;; amdgpu-corpus repo=ggml-org/llama.cpp kind=compiled arch=gfx942 opt=O3
	.text
	.amdgcn_target "amdgcn-amd-amdhsa--gfx942"
	.amdhsa_code_object_version 6
	.section	.text._ZL25dequantize_block_q8_0_f16ILb0EEvPKvP6__halfl,"axG",@progbits,_ZL25dequantize_block_q8_0_f16ILb0EEvPKvP6__halfl,comdat
	.globl	_ZL25dequantize_block_q8_0_f16ILb0EEvPKvP6__halfl ; -- Begin function _ZL25dequantize_block_q8_0_f16ILb0EEvPKvP6__halfl
	.p2align	8
	.type	_ZL25dequantize_block_q8_0_f16ILb0EEvPKvP6__halfl,@function
_ZL25dequantize_block_q8_0_f16ILb0EEvPKvP6__halfl: ; @_ZL25dequantize_block_q8_0_f16ILb0EEvPKvP6__halfl
; %bb.0:
	s_load_dwordx4 s[4:7], s[0:1], 0x0
	s_lshl_b32 s0, s2, 11
	s_mulk_i32 s2, 0x220
	s_mov_b32 s3, 0
	s_lshl_b64 s[8:9], s[2:3], 2
	s_waitcnt lgkmcnt(0)
	s_add_u32 s4, s4, s8
	s_addc_u32 s5, s5, s9
	v_lshlrev_b32_e32 v1, 2, v0
	global_load_dword v3, v1, s[4:5]
	global_load_dword v4, v1, s[4:5] offset:128
	global_load_dword v5, v1, s[4:5] offset:256
	;; [unrolled: 1-line block ×16, first 2 shown]
	v_lshlrev_b32_e32 v2, 1, v0
	v_and_b32_e32 v20, 15, v0
	v_lshrrev_b32_e32 v21, 4, v0
	v_lshlrev_b32_e32 v0, 1, v20
	v_add_u32_e32 v20, 64, v2
	v_add_u32_e32 v24, 0x80, v2
	;; [unrolled: 1-line block ×3, first 2 shown]
	v_mul_u32_u24_e32 v23, 34, v21
	v_lshrrev_b32_e32 v20, 5, v20
	v_lshrrev_b32_e32 v24, 5, v24
	;; [unrolled: 1-line block ×3, first 2 shown]
	v_add_u32_e32 v22, 0x400, v1
	v_mad_u32_u24 v21, v21, 34, v0
	v_mul_u32_u24_e32 v28, 34, v20
	v_mad_u32_u24 v20, v20, 34, v0
	v_mul_u32_u24_e32 v29, 34, v24
	v_mad_u32_u24 v24, v24, 34, v0
	v_mul_u32_u24_e32 v30, 34, v25
	v_mad_u32_u24 v25, v25, 34, v0
	s_mov_b32 s1, s3
	s_lshl_b64 s[0:1], s[0:1], 1
	s_add_u32 s0, s6, s0
	s_addc_u32 s1, s7, s1
	v_add_u32_e32 v26, 0x100, v2
	v_add_u32_e32 v27, 0x140, v2
	v_lshrrev_b32_e32 v26, 5, v26
	v_lshrrev_b32_e32 v27, 5, v27
	v_mul_u32_u24_e32 v31, 34, v26
	v_mad_u32_u24 v26, v26, 34, v0
	s_waitcnt vmcnt(15)
	ds_write2_b32 v1, v3, v4 offset1:32
	s_waitcnt vmcnt(13)
	ds_write2_b32 v1, v5, v6 offset0:64 offset1:96
	s_waitcnt vmcnt(11)
	ds_write2_b32 v1, v7, v8 offset0:128 offset1:160
	s_waitcnt vmcnt(9)
	ds_write2_b32 v1, v9, v10 offset0:192 offset1:224
	s_waitcnt vmcnt(7)
	ds_write2_b32 v22, v11, v12 offset1:32
	s_waitcnt vmcnt(5)
	ds_write2_b32 v22, v13, v14 offset0:64 offset1:96
	s_waitcnt vmcnt(3)
	ds_write2_b32 v22, v15, v16 offset0:128 offset1:160
	;; [unrolled: 2-line block ×3, first 2 shown]
	s_waitcnt vmcnt(0)
	ds_write_b32 v1, v19 offset:2048
	s_waitcnt lgkmcnt(0)
	s_barrier
	ds_read_u16 v3, v23
	ds_read_u16 v4, v21 offset:2
	ds_read_u16 v5, v28
	ds_read_u16 v6, v20 offset:2
	;; [unrolled: 2-line block ×4, first 2 shown]
	s_waitcnt lgkmcnt(6)
	v_cvt_f16_i16_sdwa v11, sext(v4) dst_sel:DWORD dst_unused:UNUSED_PAD src0_sel:BYTE_0
	v_cvt_f16_i16_sdwa v4, sext(v4) dst_sel:DWORD dst_unused:UNUSED_PAD src0_sel:BYTE_1
	s_waitcnt lgkmcnt(4)
	v_cvt_f16_i16_sdwa v12, sext(v6) dst_sel:DWORD dst_unused:UNUSED_PAD src0_sel:BYTE_0
	v_cvt_f16_i16_sdwa v6, sext(v6) dst_sel:DWORD dst_unused:UNUSED_PAD src0_sel:BYTE_1
	;; [unrolled: 3-line block ×4, first 2 shown]
	v_pack_b32_f16 v4, v11, v4
	v_pack_b32_f16 v6, v12, v6
	;; [unrolled: 1-line block ×4, first 2 shown]
	v_pk_mul_f16 v3, v3, v4 op_sel_hi:[0,1]
	v_pk_mul_f16 v4, v5, v6 op_sel_hi:[0,1]
	;; [unrolled: 1-line block ×4, first 2 shown]
	global_store_dword v1, v3, s[0:1]
	global_store_dword v1, v4, s[0:1] offset:128
	global_store_dword v1, v5, s[0:1] offset:256
	;; [unrolled: 1-line block ×3, first 2 shown]
	v_add_u32_e32 v5, 0x180, v2
	v_add_u32_e32 v7, 0x1c0, v2
	v_lshrrev_b32_e32 v5, 5, v5
	v_lshrrev_b32_e32 v7, 5, v7
	v_mul_u32_u24_e32 v3, 34, v27
	v_mad_u32_u24 v4, v27, 34, v0
	v_mul_u32_u24_e32 v6, 34, v5
	v_mad_u32_u24 v5, v5, 34, v0
	v_mul_u32_u24_e32 v8, 34, v7
	v_mad_u32_u24 v7, v7, 34, v0
	ds_read_u16 v9, v31
	ds_read_u16 v10, v26 offset:2
	ds_read_u16 v3, v3
	ds_read_u16 v4, v4 offset:2
	ds_read_u16 v6, v6
	ds_read_u16 v5, v5 offset:2
	ds_read_u16 v8, v8
	ds_read_u16 v7, v7 offset:2
	s_waitcnt lgkmcnt(6)
	v_cvt_f16_i16_sdwa v11, sext(v10) dst_sel:DWORD dst_unused:UNUSED_PAD src0_sel:BYTE_0
	v_cvt_f16_i16_sdwa v10, sext(v10) dst_sel:DWORD dst_unused:UNUSED_PAD src0_sel:BYTE_1
	v_pack_b32_f16 v10, v11, v10
	v_pk_mul_f16 v9, v9, v10 op_sel_hi:[0,1]
	global_store_dword v1, v9, s[0:1] offset:512
	s_waitcnt lgkmcnt(4)
	v_cvt_f16_i16_sdwa v9, sext(v4) dst_sel:DWORD dst_unused:UNUSED_PAD src0_sel:BYTE_0
	v_cvt_f16_i16_sdwa v4, sext(v4) dst_sel:DWORD dst_unused:UNUSED_PAD src0_sel:BYTE_1
	v_pack_b32_f16 v4, v9, v4
	v_pk_mul_f16 v3, v3, v4 op_sel_hi:[0,1]
	global_store_dword v1, v3, s[0:1] offset:640
	s_waitcnt lgkmcnt(2)
	v_cvt_f16_i16_sdwa v3, sext(v5) dst_sel:DWORD dst_unused:UNUSED_PAD src0_sel:BYTE_0
	v_cvt_f16_i16_sdwa v4, sext(v5) dst_sel:DWORD dst_unused:UNUSED_PAD src0_sel:BYTE_1
	v_pack_b32_f16 v3, v3, v4
	v_pk_mul_f16 v3, v6, v3 op_sel_hi:[0,1]
	global_store_dword v1, v3, s[0:1] offset:768
	s_waitcnt lgkmcnt(0)
	v_cvt_f16_i16_sdwa v3, sext(v7) dst_sel:DWORD dst_unused:UNUSED_PAD src0_sel:BYTE_0
	v_cvt_f16_i16_sdwa v4, sext(v7) dst_sel:DWORD dst_unused:UNUSED_PAD src0_sel:BYTE_1
	v_pack_b32_f16 v3, v3, v4
	v_pk_mul_f16 v3, v8, v3 op_sel_hi:[0,1]
	global_store_dword v1, v3, s[0:1] offset:896
	v_add_u32_e32 v3, 0x200, v2
	v_add_u32_e32 v5, 0x240, v2
	v_add_u32_e32 v7, 0x280, v2
	v_add_u32_e32 v9, 0x2c0, v2
	v_lshrrev_b32_e32 v3, 5, v3
	v_lshrrev_b32_e32 v5, 5, v5
	v_lshrrev_b32_e32 v7, 5, v7
	v_lshrrev_b32_e32 v9, 5, v9
	v_mul_u32_u24_e32 v4, 34, v3
	v_mad_u32_u24 v3, v3, 34, v0
	v_mul_u32_u24_e32 v6, 34, v5
	v_mad_u32_u24 v5, v5, 34, v0
	v_mul_u32_u24_e32 v8, 34, v7
	v_mad_u32_u24 v7, v7, 34, v0
	v_mul_u32_u24_e32 v10, 34, v9
	v_mad_u32_u24 v9, v9, 34, v0
	ds_read_u16 v4, v4
	ds_read_u16 v3, v3 offset:2
	ds_read_u16 v6, v6
	ds_read_u16 v5, v5 offset:2
	ds_read_u16 v8, v8
	ds_read_u16 v7, v7 offset:2
	ds_read_u16 v10, v10
	ds_read_u16 v9, v9 offset:2
	s_waitcnt lgkmcnt(6)
	v_cvt_f16_i16_sdwa v11, sext(v3) dst_sel:DWORD dst_unused:UNUSED_PAD src0_sel:BYTE_0
	v_cvt_f16_i16_sdwa v3, sext(v3) dst_sel:DWORD dst_unused:UNUSED_PAD src0_sel:BYTE_1
	v_pack_b32_f16 v3, v11, v3
	v_pk_mul_f16 v3, v4, v3 op_sel_hi:[0,1]
	global_store_dword v1, v3, s[0:1] offset:1024
	s_waitcnt lgkmcnt(4)
	v_cvt_f16_i16_sdwa v3, sext(v5) dst_sel:DWORD dst_unused:UNUSED_PAD src0_sel:BYTE_0
	v_cvt_f16_i16_sdwa v4, sext(v5) dst_sel:DWORD dst_unused:UNUSED_PAD src0_sel:BYTE_1
	v_pack_b32_f16 v3, v3, v4
	v_pk_mul_f16 v3, v6, v3 op_sel_hi:[0,1]
	global_store_dword v1, v3, s[0:1] offset:1152
	s_waitcnt lgkmcnt(2)
	v_cvt_f16_i16_sdwa v3, sext(v7) dst_sel:DWORD dst_unused:UNUSED_PAD src0_sel:BYTE_0
	v_cvt_f16_i16_sdwa v4, sext(v7) dst_sel:DWORD dst_unused:UNUSED_PAD src0_sel:BYTE_1
	v_pack_b32_f16 v3, v3, v4
	v_pk_mul_f16 v3, v8, v3 op_sel_hi:[0,1]
	global_store_dword v1, v3, s[0:1] offset:1280
	s_waitcnt lgkmcnt(0)
	v_cvt_f16_i16_sdwa v3, sext(v9) dst_sel:DWORD dst_unused:UNUSED_PAD src0_sel:BYTE_0
	v_cvt_f16_i16_sdwa v4, sext(v9) dst_sel:DWORD dst_unused:UNUSED_PAD src0_sel:BYTE_1
	v_pack_b32_f16 v3, v3, v4
	v_pk_mul_f16 v3, v10, v3 op_sel_hi:[0,1]
	global_store_dword v1, v3, s[0:1] offset:1408
	v_add_u32_e32 v3, 0x300, v2
	v_add_u32_e32 v5, 0x340, v2
	v_add_u32_e32 v7, 0x380, v2
	v_add_u32_e32 v9, 0x3c0, v2
	v_lshrrev_b32_e32 v3, 5, v3
	v_lshrrev_b32_e32 v5, 5, v5
	v_lshrrev_b32_e32 v7, 5, v7
	v_lshrrev_b32_e32 v9, 5, v9
	v_mul_u32_u24_e32 v4, 34, v3
	v_mad_u32_u24 v3, v3, 34, v0
	;; [unrolled: 48-line block ×6, first 2 shown]
	v_mul_u32_u24_e32 v6, 34, v5
	v_mad_u32_u24 v5, v5, 34, v0
	v_mul_u32_u24_e32 v8, 34, v7
	v_mad_u32_u24 v7, v7, 34, v0
	v_mad_u32_u24 v0, v2, 34, v0
	v_mul_u32_u24_e32 v9, 34, v2
	ds_read_u16 v2, v4
	ds_read_u16 v3, v3 offset:2
	ds_read_u16 v4, v6
	ds_read_u16 v5, v5 offset:2
	ds_read_u16 v6, v8
	ds_read_u16 v7, v7 offset:2
	ds_read_u16 v8, v9
	ds_read_u16 v0, v0 offset:2
	s_waitcnt lgkmcnt(6)
	v_cvt_f16_i16_sdwa v9, sext(v3) dst_sel:DWORD dst_unused:UNUSED_PAD src0_sel:BYTE_0
	v_cvt_f16_i16_sdwa v3, sext(v3) dst_sel:DWORD dst_unused:UNUSED_PAD src0_sel:BYTE_1
	v_pack_b32_f16 v3, v9, v3
	v_pk_mul_f16 v2, v2, v3 op_sel_hi:[0,1]
	global_store_dword v1, v2, s[0:1] offset:3584
	s_waitcnt lgkmcnt(4)
	v_cvt_f16_i16_sdwa v2, sext(v5) dst_sel:DWORD dst_unused:UNUSED_PAD src0_sel:BYTE_0
	v_cvt_f16_i16_sdwa v3, sext(v5) dst_sel:DWORD dst_unused:UNUSED_PAD src0_sel:BYTE_1
	v_pack_b32_f16 v2, v2, v3
	v_pk_mul_f16 v2, v4, v2 op_sel_hi:[0,1]
	global_store_dword v1, v2, s[0:1] offset:3712
	;; [unrolled: 6-line block ×4, first 2 shown]
	s_endpgm
	.section	.rodata,"a",@progbits
	.p2align	6, 0x0
	.amdhsa_kernel _ZL25dequantize_block_q8_0_f16ILb0EEvPKvP6__halfl
		.amdhsa_group_segment_fixed_size 2176
		.amdhsa_private_segment_fixed_size 0
		.amdhsa_kernarg_size 24
		.amdhsa_user_sgpr_count 2
		.amdhsa_user_sgpr_dispatch_ptr 0
		.amdhsa_user_sgpr_queue_ptr 0
		.amdhsa_user_sgpr_kernarg_segment_ptr 1
		.amdhsa_user_sgpr_dispatch_id 0
		.amdhsa_user_sgpr_kernarg_preload_length 0
		.amdhsa_user_sgpr_kernarg_preload_offset 0
		.amdhsa_user_sgpr_private_segment_size 0
		.amdhsa_uses_dynamic_stack 0
		.amdhsa_enable_private_segment 0
		.amdhsa_system_sgpr_workgroup_id_x 1
		.amdhsa_system_sgpr_workgroup_id_y 0
		.amdhsa_system_sgpr_workgroup_id_z 0
		.amdhsa_system_sgpr_workgroup_info 0
		.amdhsa_system_vgpr_workitem_id 0
		.amdhsa_next_free_vgpr 32
		.amdhsa_next_free_sgpr 10
		.amdhsa_accum_offset 32
		.amdhsa_reserve_vcc 0
		.amdhsa_float_round_mode_32 0
		.amdhsa_float_round_mode_16_64 0
		.amdhsa_float_denorm_mode_32 3
		.amdhsa_float_denorm_mode_16_64 3
		.amdhsa_dx10_clamp 1
		.amdhsa_ieee_mode 1
		.amdhsa_fp16_overflow 0
		.amdhsa_tg_split 0
		.amdhsa_exception_fp_ieee_invalid_op 0
		.amdhsa_exception_fp_denorm_src 0
		.amdhsa_exception_fp_ieee_div_zero 0
		.amdhsa_exception_fp_ieee_overflow 0
		.amdhsa_exception_fp_ieee_underflow 0
		.amdhsa_exception_fp_ieee_inexact 0
		.amdhsa_exception_int_div_zero 0
	.end_amdhsa_kernel
	.section	.text._ZL25dequantize_block_q8_0_f16ILb0EEvPKvP6__halfl,"axG",@progbits,_ZL25dequantize_block_q8_0_f16ILb0EEvPKvP6__halfl,comdat
.Lfunc_end0:
	.size	_ZL25dequantize_block_q8_0_f16ILb0EEvPKvP6__halfl, .Lfunc_end0-_ZL25dequantize_block_q8_0_f16ILb0EEvPKvP6__halfl
                                        ; -- End function
	.section	.AMDGPU.csdata,"",@progbits
; Kernel info:
; codeLenInByte = 3008
; NumSgprs: 16
; NumVgprs: 32
; NumAgprs: 0
; TotalNumVgprs: 32
; ScratchSize: 0
; MemoryBound: 0
; FloatMode: 240
; IeeeMode: 1
; LDSByteSize: 2176 bytes/workgroup (compile time only)
; SGPRBlocks: 1
; VGPRBlocks: 3
; NumSGPRsForWavesPerEU: 16
; NumVGPRsForWavesPerEU: 32
; AccumOffset: 32
; Occupancy: 8
; WaveLimiterHint : 1
; COMPUTE_PGM_RSRC2:SCRATCH_EN: 0
; COMPUTE_PGM_RSRC2:USER_SGPR: 2
; COMPUTE_PGM_RSRC2:TRAP_HANDLER: 0
; COMPUTE_PGM_RSRC2:TGID_X_EN: 1
; COMPUTE_PGM_RSRC2:TGID_Y_EN: 0
; COMPUTE_PGM_RSRC2:TGID_Z_EN: 0
; COMPUTE_PGM_RSRC2:TIDIG_COMP_CNT: 0
; COMPUTE_PGM_RSRC3_GFX90A:ACCUM_OFFSET: 7
; COMPUTE_PGM_RSRC3_GFX90A:TG_SPLIT: 0
	.section	.text._ZL25dequantize_block_q8_0_f16ILb1EEvPKvP6__halfl,"axG",@progbits,_ZL25dequantize_block_q8_0_f16ILb1EEvPKvP6__halfl,comdat
	.globl	_ZL25dequantize_block_q8_0_f16ILb1EEvPKvP6__halfl ; -- Begin function _ZL25dequantize_block_q8_0_f16ILb1EEvPKvP6__halfl
	.p2align	8
	.type	_ZL25dequantize_block_q8_0_f16ILb1EEvPKvP6__halfl,@function
_ZL25dequantize_block_q8_0_f16ILb1EEvPKvP6__halfl: ; @_ZL25dequantize_block_q8_0_f16ILb1EEvPKvP6__halfl
; %bb.0:
	s_load_dwordx2 s[4:5], s[0:1], 0x10
	s_lshl_b32 s6, s2, 11
	s_mul_i32 s8, s2, 0x11000
	s_mul_hi_u32 s9, s6, 34
	v_mov_b32_e32 v3, 0
	s_waitcnt lgkmcnt(0)
	s_mul_i32 s3, s5, 34
	s_mul_hi_u32 s10, s4, 34
	s_lshr_b64 s[8:9], s[8:9], 5
	s_add_i32 s11, s10, s3
	s_mul_i32 s10, s4, 34
	v_lshlrev_b32_e32 v4, 2, v0
	v_mov_b32_e32 v5, v3
	s_lshr_b64 s[12:13], s[10:11], 5
	v_lshl_add_u64 v[6:7], s[8:9], 0, v[4:5]
	s_mov_b32 s7, 0
	v_cmp_gt_u64_e32 vcc, s[12:13], v[6:7]
	s_and_saveexec_b64 s[10:11], vcc
	s_cbranch_execz .LBB1_18
; %bb.1:
	s_load_dwordx2 s[14:15], s[0:1], 0x0
	s_mulk_i32 s2, 0x220
	s_mov_b32 s3, s7
	s_lshl_b64 s[2:3], s[2:3], 2
	v_add_u32_e32 v2, 0x80, v4
	s_waitcnt lgkmcnt(0)
	s_add_u32 s2, s14, s2
	s_addc_u32 s3, s15, s3
	global_load_dword v1, v4, s[2:3]
	v_lshl_add_u64 v[6:7], s[8:9], 0, v[2:3]
	v_cmp_gt_u64_e32 vcc, s[12:13], v[6:7]
	s_waitcnt vmcnt(0)
	ds_write_b32 v4, v1
	s_and_b64 exec, exec, vcc
	s_cbranch_execz .LBB1_18
; %bb.2:
	v_mov_b32_e32 v5, v3
	v_lshl_add_u64 v[2:3], s[2:3], 0, v[4:5]
	global_load_dword v1, v[2:3], off offset:128
	v_mov_b32_e32 v5, 0x100
	v_mov_b32_e32 v7, 0
	v_lshl_add_u32 v6, v0, 2, v5
	v_lshl_add_u64 v[8:9], s[8:9], 0, v[6:7]
	v_cmp_gt_u64_e32 vcc, s[12:13], v[8:9]
	s_waitcnt vmcnt(0)
	ds_write_b32 v4, v1 offset:128
	s_and_b64 exec, exec, vcc
	s_cbranch_execz .LBB1_18
; %bb.3:
	global_load_dword v1, v[2:3], off offset:256
	v_mov_b32_e32 v5, 0x180
	v_lshl_add_u32 v6, v0, 2, v5
	v_lshl_add_u64 v[6:7], s[8:9], 0, v[6:7]
	v_cmp_gt_u64_e32 vcc, s[12:13], v[6:7]
	s_waitcnt vmcnt(0)
	ds_write_b32 v4, v1 offset:256
	s_and_b64 exec, exec, vcc
	s_cbranch_execz .LBB1_18
; %bb.4:
	global_load_dword v1, v[2:3], off offset:384
	v_mov_b32_e32 v5, 0x200
	v_mov_b32_e32 v7, 0
	v_lshl_add_u32 v6, v0, 2, v5
	v_lshl_add_u64 v[8:9], s[8:9], 0, v[6:7]
	v_cmp_gt_u64_e32 vcc, s[12:13], v[8:9]
	s_waitcnt vmcnt(0)
	ds_write_b32 v4, v1 offset:384
	s_and_b64 exec, exec, vcc
	s_cbranch_execz .LBB1_18
; %bb.5:
	global_load_dword v1, v[2:3], off offset:512
	v_mov_b32_e32 v5, 0x280
	v_lshl_add_u32 v6, v0, 2, v5
	v_lshl_add_u64 v[6:7], s[8:9], 0, v[6:7]
	v_cmp_gt_u64_e32 vcc, s[12:13], v[6:7]
	s_waitcnt vmcnt(0)
	ds_write_b32 v4, v1 offset:512
	s_and_b64 exec, exec, vcc
	s_cbranch_execz .LBB1_18
; %bb.6:
	;; [unrolled: 21-line block ×7, first 2 shown]
	global_load_dword v1, v[2:3], off offset:1920
	v_mov_b32_e32 v5, 0x800
	v_mov_b32_e32 v7, 0
	v_lshl_add_u32 v6, v0, 2, v5
	v_lshl_add_u64 v[6:7], s[8:9], 0, v[6:7]
	v_cmp_gt_u64_e32 vcc, s[12:13], v[6:7]
	s_waitcnt vmcnt(0)
	ds_write_b32 v4, v1 offset:1920
	s_and_b64 exec, exec, vcc
	s_cbranch_execz .LBB1_18
; %bb.17:
	global_load_dword v1, v[2:3], off offset:2048
	s_waitcnt vmcnt(0)
	ds_write_b32 v4, v1 offset:2048
.LBB1_18:
	s_or_b64 exec, exec, s[10:11]
	v_lshlrev_b32_e32 v2, 1, v0
	v_or_b32_e32 v6, s6, v2
	v_mov_b32_e32 v7, s7
	v_cmp_gt_i64_e32 vcc, s[4:5], v[6:7]
	s_waitcnt lgkmcnt(0)
	s_barrier
	s_and_saveexec_b64 s[2:3], vcc
	s_cbranch_execz .LBB1_51
; %bb.19:
	v_and_b32_e32 v1, 15, v0
	v_lshrrev_b32_e32 v0, 4, v0
	v_lshlrev_b32_e32 v6, 1, v1
	v_mul_u32_u24_e32 v3, 34, v0
	v_mad_u32_u24 v0, v0, 34, v6
	ds_read_u16 v1, v3
	ds_read_u16 v0, v0 offset:2
	s_load_dwordx2 s[0:1], s[0:1], 0x8
	s_lshl_b64 s[2:3], s[6:7], 1
	v_mov_b32_e32 v3, 0
	s_waitcnt lgkmcnt(0)
	v_cvt_f16_i16_sdwa v5, sext(v0) dst_sel:DWORD dst_unused:UNUSED_PAD src0_sel:BYTE_0
	v_cvt_f16_i16_sdwa v0, sext(v0) dst_sel:DWORD dst_unused:UNUSED_PAD src0_sel:BYTE_1
	s_add_u32 s2, s0, s2
	v_pack_b32_f16 v0, v5, v0
	s_addc_u32 s3, s1, s3
	v_pk_mul_f16 v0, v1, v0 op_sel_hi:[0,1]
	s_mov_b32 s1, 0
	s_or_b32 s0, s6, 64
	global_store_dword v4, v0, s[2:3]
	v_lshl_add_u64 v[0:1], s[0:1], 0, v[2:3]
	v_cmp_gt_u64_e32 vcc, s[4:5], v[0:1]
	s_and_b64 exec, exec, vcc
	s_cbranch_execz .LBB1_51
; %bb.20:
	v_add_u32_e32 v0, 64, v2
	v_lshrrev_b32_e32 v0, 5, v0
	v_mad_u32_u24 v1, v0, 34, v6
	ds_read_u16 v7, v1 offset:2
	v_mul_u32_u24_e32 v0, 34, v0
	ds_read_u16 v8, v0
	v_mov_b32_e32 v5, v3
	v_lshl_add_u64 v[0:1], s[2:3], 0, v[4:5]
	s_waitcnt lgkmcnt(1)
	v_cvt_f16_i16_sdwa v4, sext(v7) dst_sel:DWORD dst_unused:UNUSED_PAD src0_sel:BYTE_0
	v_cvt_f16_i16_sdwa v5, sext(v7) dst_sel:DWORD dst_unused:UNUSED_PAD src0_sel:BYTE_1
	v_pack_b32_f16 v4, v4, v5
	s_waitcnt lgkmcnt(0)
	v_pk_mul_f16 v4, v8, v4 op_sel_hi:[0,1]
	s_or_b32 s0, s6, 0x80
	global_store_dword v[0:1], v4, off offset:128
	v_lshl_add_u64 v[4:5], s[0:1], 0, v[2:3]
	v_cmp_gt_u64_e32 vcc, s[4:5], v[4:5]
	s_and_b64 exec, exec, vcc
	s_cbranch_execz .LBB1_51
; %bb.21:
	v_add_u32_e32 v4, 0x80, v2
	v_lshrrev_b32_e32 v4, 5, v4
	v_mad_u32_u24 v5, v4, 34, v6
	ds_read_u16 v5, v5 offset:2
	v_mul_u32_u24_e32 v4, 34, v4
	ds_read_u16 v4, v4
	s_or_b32 s0, s6, 0xc0
	s_waitcnt lgkmcnt(1)
	v_cvt_f16_i16_sdwa v7, sext(v5) dst_sel:DWORD dst_unused:UNUSED_PAD src0_sel:BYTE_0
	v_cvt_f16_i16_sdwa v5, sext(v5) dst_sel:DWORD dst_unused:UNUSED_PAD src0_sel:BYTE_1
	v_pack_b32_f16 v5, v7, v5
	s_waitcnt lgkmcnt(0)
	v_pk_mul_f16 v4, v4, v5 op_sel_hi:[0,1]
	global_store_dword v[0:1], v4, off offset:256
	v_lshl_add_u64 v[4:5], s[0:1], 0, v[2:3]
	v_cmp_gt_u64_e32 vcc, s[4:5], v[4:5]
	s_and_b64 exec, exec, vcc
	s_cbranch_execz .LBB1_51
; %bb.22:
	v_add_u32_e32 v4, 0xc0, v2
	v_lshrrev_b32_e32 v4, 5, v4
	v_mad_u32_u24 v5, v4, 34, v6
	ds_read_u16 v5, v5 offset:2
	v_mul_u32_u24_e32 v4, 34, v4
	ds_read_u16 v4, v4
	s_or_b32 s0, s6, 0x100
	s_waitcnt lgkmcnt(1)
	v_cvt_f16_i16_sdwa v7, sext(v5) dst_sel:DWORD dst_unused:UNUSED_PAD src0_sel:BYTE_0
	v_cvt_f16_i16_sdwa v5, sext(v5) dst_sel:DWORD dst_unused:UNUSED_PAD src0_sel:BYTE_1
	v_pack_b32_f16 v5, v7, v5
	s_waitcnt lgkmcnt(0)
	v_pk_mul_f16 v4, v4, v5 op_sel_hi:[0,1]
	;; [unrolled: 19-line block ×29, first 2 shown]
	global_store_dword v[0:1], v4, off offset:3840
	v_lshl_add_u64 v[4:5], s[0:1], 0, v[2:3]
	v_cmp_gt_u64_e32 vcc, s[4:5], v[4:5]
	s_and_b64 exec, exec, vcc
	s_cbranch_execz .LBB1_51
; %bb.50:
	v_add_u32_e32 v2, 0x7c0, v2
	v_lshrrev_b32_e32 v2, 5, v2
	v_mad_u32_u24 v3, v2, 34, v6
	ds_read_u16 v3, v3 offset:2
	v_mul_u32_u24_e32 v2, 34, v2
	ds_read_u16 v2, v2
	s_waitcnt lgkmcnt(1)
	v_cvt_f16_i16_sdwa v4, sext(v3) dst_sel:DWORD dst_unused:UNUSED_PAD src0_sel:BYTE_0
	v_cvt_f16_i16_sdwa v3, sext(v3) dst_sel:DWORD dst_unused:UNUSED_PAD src0_sel:BYTE_1
	v_pack_b32_f16 v3, v4, v3
	s_waitcnt lgkmcnt(0)
	v_pk_mul_f16 v2, v2, v3 op_sel_hi:[0,1]
	global_store_dword v[0:1], v2, off offset:3968
.LBB1_51:
	s_endpgm
	.section	.rodata,"a",@progbits
	.p2align	6, 0x0
	.amdhsa_kernel _ZL25dequantize_block_q8_0_f16ILb1EEvPKvP6__halfl
		.amdhsa_group_segment_fixed_size 2176
		.amdhsa_private_segment_fixed_size 0
		.amdhsa_kernarg_size 24
		.amdhsa_user_sgpr_count 2
		.amdhsa_user_sgpr_dispatch_ptr 0
		.amdhsa_user_sgpr_queue_ptr 0
		.amdhsa_user_sgpr_kernarg_segment_ptr 1
		.amdhsa_user_sgpr_dispatch_id 0
		.amdhsa_user_sgpr_kernarg_preload_length 0
		.amdhsa_user_sgpr_kernarg_preload_offset 0
		.amdhsa_user_sgpr_private_segment_size 0
		.amdhsa_uses_dynamic_stack 0
		.amdhsa_enable_private_segment 0
		.amdhsa_system_sgpr_workgroup_id_x 1
		.amdhsa_system_sgpr_workgroup_id_y 0
		.amdhsa_system_sgpr_workgroup_id_z 0
		.amdhsa_system_sgpr_workgroup_info 0
		.amdhsa_system_vgpr_workitem_id 0
		.amdhsa_next_free_vgpr 10
		.amdhsa_next_free_sgpr 16
		.amdhsa_accum_offset 12
		.amdhsa_reserve_vcc 1
		.amdhsa_float_round_mode_32 0
		.amdhsa_float_round_mode_16_64 0
		.amdhsa_float_denorm_mode_32 3
		.amdhsa_float_denorm_mode_16_64 3
		.amdhsa_dx10_clamp 1
		.amdhsa_ieee_mode 1
		.amdhsa_fp16_overflow 0
		.amdhsa_tg_split 0
		.amdhsa_exception_fp_ieee_invalid_op 0
		.amdhsa_exception_fp_denorm_src 0
		.amdhsa_exception_fp_ieee_div_zero 0
		.amdhsa_exception_fp_ieee_overflow 0
		.amdhsa_exception_fp_ieee_underflow 0
		.amdhsa_exception_fp_ieee_inexact 0
		.amdhsa_exception_int_div_zero 0
	.end_amdhsa_kernel
	.section	.text._ZL25dequantize_block_q8_0_f16ILb1EEvPKvP6__halfl,"axG",@progbits,_ZL25dequantize_block_q8_0_f16ILb1EEvPKvP6__halfl,comdat
.Lfunc_end1:
	.size	_ZL25dequantize_block_q8_0_f16ILb1EEvPKvP6__halfl, .Lfunc_end1-_ZL25dequantize_block_q8_0_f16ILb1EEvPKvP6__halfl
                                        ; -- End function
	.section	.AMDGPU.csdata,"",@progbits
; Kernel info:
; codeLenInByte = 4824
; NumSgprs: 22
; NumVgprs: 10
; NumAgprs: 0
; TotalNumVgprs: 10
; ScratchSize: 0
; MemoryBound: 0
; FloatMode: 240
; IeeeMode: 1
; LDSByteSize: 2176 bytes/workgroup (compile time only)
; SGPRBlocks: 2
; VGPRBlocks: 1
; NumSGPRsForWavesPerEU: 22
; NumVGPRsForWavesPerEU: 10
; AccumOffset: 12
; Occupancy: 8
; WaveLimiterHint : 0
; COMPUTE_PGM_RSRC2:SCRATCH_EN: 0
; COMPUTE_PGM_RSRC2:USER_SGPR: 2
; COMPUTE_PGM_RSRC2:TRAP_HANDLER: 0
; COMPUTE_PGM_RSRC2:TGID_X_EN: 1
; COMPUTE_PGM_RSRC2:TGID_Y_EN: 0
; COMPUTE_PGM_RSRC2:TGID_Z_EN: 0
; COMPUTE_PGM_RSRC2:TIDIG_COMP_CNT: 0
; COMPUTE_PGM_RSRC3_GFX90A:ACCUM_OFFSET: 2
; COMPUTE_PGM_RSRC3_GFX90A:TG_SPLIT: 0
	.section	.text._ZL21dequantize_block_q4_0I6__halfEvPKvPT_i,"axG",@progbits,_ZL21dequantize_block_q4_0I6__halfEvPKvPT_i,comdat
	.globl	_ZL21dequantize_block_q4_0I6__halfEvPKvPT_i ; -- Begin function _ZL21dequantize_block_q4_0I6__halfEvPKvPT_i
	.p2align	8
	.type	_ZL21dequantize_block_q4_0I6__halfEvPKvPT_i,@function
_ZL21dequantize_block_q4_0I6__halfEvPKvPT_i: ; @_ZL21dequantize_block_q4_0I6__halfEvPKvPT_i
; %bb.0:
	s_load_dword s4, s[0:1], 0x10
	s_mov_b32 s3, 0
	v_and_b32_e32 v2, 7, v0
	s_lshl_b64 s[6:7], s[2:3], 3
	v_mov_b32_e32 v5, s7
	s_waitcnt lgkmcnt(0)
	s_ashr_i32 s5, s4, 31
	v_or_b32_e32 v4, s6, v2
	v_mov_b32_e32 v3, 0
	v_cmp_gt_i64_e32 vcc, s[4:5], v[4:5]
	s_and_saveexec_b64 s[4:5], vcc
	s_cbranch_execz .LBB2_2
; %bb.1:
	s_load_dwordx4 s[4:7], s[0:1], 0x0
	s_lshl_b64 s[0:1], s[2:3], 9
	v_lshlrev_b32_e32 v2, 6, v2
	v_lshrrev_b32_e32 v6, 1, v0
	s_waitcnt lgkmcnt(0)
	s_add_u32 s0, s6, s0
	s_addc_u32 s1, s7, s1
	v_lshl_add_u64 v[0:1], s[0:1], 0, v[2:3]
	v_and_b32_e32 v2, 0x1fc, v6
	v_mad_u64_u32 v[6:7], s[0:1], v4, 18, s[4:5]
	v_mad_u32_u24 v7, v5, 18, v7
	v_lshl_add_u64 v[4:5], v[6:7], 0, v[2:3]
	global_load_ushort v8, v[6:7], off
	global_load_dword v9, v[4:5], off offset:2
	v_lshlrev_b32_e32 v2, 1, v2
	v_lshl_add_u64 v[0:1], v[0:1], 0, v[2:3]
	v_mov_b32_e32 v4, 4
	s_waitcnt vmcnt(1)
	v_cvt_f32_f16_e32 v2, v8
	s_waitcnt vmcnt(0)
	v_lshrrev_b32_e32 v3, 8, v9
	v_and_b32_e32 v5, 15, v9
	v_lshrrev_b16_e32 v6, 4, v9
	v_bfe_u32 v10, v9, 16, 4
	v_lshrrev_b16_e32 v3, 4, v3
	v_bfe_u32 v7, v9, 8, 4
	v_bfe_u32 v11, v9, 20, 4
	;; [unrolled: 1-line block ×3, first 2 shown]
	v_lshrrev_b16_sdwa v4, v4, v9 dst_sel:DWORD dst_unused:UNUSED_PAD src0_sel:DWORD src1_sel:BYTE_3
	v_cvt_f32_ubyte0_e32 v5, v5
	v_and_b32_e32 v6, 15, v6
	v_cvt_f32_ubyte0_e32 v9, v10
	v_mul_f32_e32 v13, 0xc1000000, v2
	v_and_b32_e32 v3, 15, v3
	v_cvt_f32_ubyte0_e32 v7, v7
	v_cvt_f32_ubyte0_e32 v10, v11
	;; [unrolled: 1-line block ×5, first 2 shown]
	v_fma_mixlo_f16 v2, v8, v5, v13 op_sel_hi:[1,0,0]
	v_cvt_f32_ubyte0_e32 v6, v3
	v_fma_mixlo_f16 v3, v8, v9, v13 op_sel_hi:[1,0,0]
	v_fma_mixlo_f16 v4, v8, v4, v13 op_sel_hi:[1,0,0]
	;; [unrolled: 1-line block ×3, first 2 shown]
	v_fma_mixhi_f16 v3, v8, v11, v13 op_sel_hi:[1,0,0]
	v_fma_mixhi_f16 v2, v8, v7, v13 op_sel_hi:[1,0,0]
	;; [unrolled: 1-line block ×4, first 2 shown]
	global_store_dwordx2 v[0:1], v[2:3], off
	global_store_dwordx2 v[0:1], v[4:5], off offset:32
.LBB2_2:
	s_endpgm
	.section	.rodata,"a",@progbits
	.p2align	6, 0x0
	.amdhsa_kernel _ZL21dequantize_block_q4_0I6__halfEvPKvPT_i
		.amdhsa_group_segment_fixed_size 0
		.amdhsa_private_segment_fixed_size 0
		.amdhsa_kernarg_size 20
		.amdhsa_user_sgpr_count 2
		.amdhsa_user_sgpr_dispatch_ptr 0
		.amdhsa_user_sgpr_queue_ptr 0
		.amdhsa_user_sgpr_kernarg_segment_ptr 1
		.amdhsa_user_sgpr_dispatch_id 0
		.amdhsa_user_sgpr_kernarg_preload_length 0
		.amdhsa_user_sgpr_kernarg_preload_offset 0
		.amdhsa_user_sgpr_private_segment_size 0
		.amdhsa_uses_dynamic_stack 0
		.amdhsa_enable_private_segment 0
		.amdhsa_system_sgpr_workgroup_id_x 1
		.amdhsa_system_sgpr_workgroup_id_y 0
		.amdhsa_system_sgpr_workgroup_id_z 0
		.amdhsa_system_sgpr_workgroup_info 0
		.amdhsa_system_vgpr_workitem_id 0
		.amdhsa_next_free_vgpr 14
		.amdhsa_next_free_sgpr 8
		.amdhsa_accum_offset 16
		.amdhsa_reserve_vcc 1
		.amdhsa_float_round_mode_32 0
		.amdhsa_float_round_mode_16_64 0
		.amdhsa_float_denorm_mode_32 3
		.amdhsa_float_denorm_mode_16_64 3
		.amdhsa_dx10_clamp 1
		.amdhsa_ieee_mode 1
		.amdhsa_fp16_overflow 0
		.amdhsa_tg_split 0
		.amdhsa_exception_fp_ieee_invalid_op 0
		.amdhsa_exception_fp_denorm_src 0
		.amdhsa_exception_fp_ieee_div_zero 0
		.amdhsa_exception_fp_ieee_overflow 0
		.amdhsa_exception_fp_ieee_underflow 0
		.amdhsa_exception_fp_ieee_inexact 0
		.amdhsa_exception_int_div_zero 0
	.end_amdhsa_kernel
	.section	.text._ZL21dequantize_block_q4_0I6__halfEvPKvPT_i,"axG",@progbits,_ZL21dequantize_block_q4_0I6__halfEvPKvPT_i,comdat
.Lfunc_end2:
	.size	_ZL21dequantize_block_q4_0I6__halfEvPKvPT_i, .Lfunc_end2-_ZL21dequantize_block_q4_0I6__halfEvPKvPT_i
                                        ; -- End function
	.section	.AMDGPU.csdata,"",@progbits
; Kernel info:
; codeLenInByte = 356
; NumSgprs: 14
; NumVgprs: 14
; NumAgprs: 0
; TotalNumVgprs: 14
; ScratchSize: 0
; MemoryBound: 0
; FloatMode: 240
; IeeeMode: 1
; LDSByteSize: 0 bytes/workgroup (compile time only)
; SGPRBlocks: 1
; VGPRBlocks: 1
; NumSGPRsForWavesPerEU: 14
; NumVGPRsForWavesPerEU: 14
; AccumOffset: 16
; Occupancy: 8
; WaveLimiterHint : 0
; COMPUTE_PGM_RSRC2:SCRATCH_EN: 0
; COMPUTE_PGM_RSRC2:USER_SGPR: 2
; COMPUTE_PGM_RSRC2:TRAP_HANDLER: 0
; COMPUTE_PGM_RSRC2:TGID_X_EN: 1
; COMPUTE_PGM_RSRC2:TGID_Y_EN: 0
; COMPUTE_PGM_RSRC2:TGID_Z_EN: 0
; COMPUTE_PGM_RSRC2:TIDIG_COMP_CNT: 0
; COMPUTE_PGM_RSRC3_GFX90A:ACCUM_OFFSET: 3
; COMPUTE_PGM_RSRC3_GFX90A:TG_SPLIT: 0
	.section	.text._ZL21dequantize_block_q4_1I6__halfEvPKvPT_i,"axG",@progbits,_ZL21dequantize_block_q4_1I6__halfEvPKvPT_i,comdat
	.globl	_ZL21dequantize_block_q4_1I6__halfEvPKvPT_i ; -- Begin function _ZL21dequantize_block_q4_1I6__halfEvPKvPT_i
	.p2align	8
	.type	_ZL21dequantize_block_q4_1I6__halfEvPKvPT_i,@function
_ZL21dequantize_block_q4_1I6__halfEvPKvPT_i: ; @_ZL21dequantize_block_q4_1I6__halfEvPKvPT_i
; %bb.0:
	s_load_dword s4, s[0:1], 0x10
	s_mov_b32 s3, 0
	v_and_b32_e32 v2, 7, v0
	s_lshl_b64 s[6:7], s[2:3], 3
	v_mov_b32_e32 v5, s7
	s_waitcnt lgkmcnt(0)
	s_ashr_i32 s5, s4, 31
	v_or_b32_e32 v4, s6, v2
	v_mov_b32_e32 v3, 0
	v_cmp_gt_i64_e32 vcc, s[4:5], v[4:5]
	s_and_saveexec_b64 s[4:5], vcc
	s_cbranch_execz .LBB3_2
; %bb.1:
	s_load_dwordx4 s[4:7], s[0:1], 0x0
	s_lshl_b64 s[0:1], s[2:3], 9
	v_lshlrev_b32_e32 v2, 6, v2
	v_lshrrev_b32_e32 v6, 1, v0
	s_waitcnt lgkmcnt(0)
	s_add_u32 s0, s6, s0
	s_addc_u32 s1, s7, s1
	v_lshl_add_u64 v[0:1], s[0:1], 0, v[2:3]
	v_and_b32_e32 v2, 0x1fc, v6
	v_mad_u64_u32 v[6:7], s[0:1], v4, 20, s[4:5]
	v_mad_u32_u24 v7, v5, 20, v7
	v_lshl_add_u64 v[4:5], v[6:7], 0, v[2:3]
	global_load_dword v8, v[4:5], off offset:4
	global_load_dword v9, v[6:7], off
	v_lshlrev_b32_e32 v2, 1, v2
	v_mov_b32_e32 v4, 4
	v_lshl_add_u64 v[0:1], v[0:1], 0, v[2:3]
	s_waitcnt vmcnt(1)
	v_lshrrev_b32_e32 v2, 8, v8
	v_lshrrev_b16_e32 v5, 4, v8
	v_and_b32_e32 v3, 15, v8
	v_bfe_u32 v6, v8, 8, 4
	v_bfe_u32 v7, v8, 16, 4
	;; [unrolled: 1-line block ×4, first 2 shown]
	v_lshrrev_b16_sdwa v4, v4, v8 dst_sel:DWORD dst_unused:UNUSED_PAD src0_sel:DWORD src1_sel:BYTE_3
	v_and_b32_e32 v5, 15, v5
	v_lshrrev_b16_e32 v8, 4, v2
	v_cvt_f32_ubyte0_e32 v3, v3
	v_cvt_f32_ubyte0_e32 v7, v7
	;; [unrolled: 1-line block ×5, first 2 shown]
	v_and_b32_e32 v8, 15, v8
	v_cvt_f32_ubyte0_e32 v6, v6
	v_cvt_f32_ubyte0_e32 v11, v11
	s_waitcnt vmcnt(0)
	v_fma_mixlo_f16 v2, v9, v3, v9 op_sel:[0,0,1] op_sel_hi:[1,0,1]
	v_fma_mixlo_f16 v3, v9, v7, v9 op_sel:[0,0,1] op_sel_hi:[1,0,1]
	;; [unrolled: 1-line block ×4, first 2 shown]
	v_cvt_f32_ubyte0_e32 v7, v8
	v_fma_mixhi_f16 v3, v9, v11, v9 op_sel:[0,0,1] op_sel_hi:[1,0,1]
	v_fma_mixhi_f16 v2, v9, v6, v9 op_sel:[0,0,1] op_sel_hi:[1,0,1]
	;; [unrolled: 1-line block ×4, first 2 shown]
	global_store_dwordx2 v[0:1], v[2:3], off
	global_store_dwordx2 v[0:1], v[4:5], off offset:32
.LBB3_2:
	s_endpgm
	.section	.rodata,"a",@progbits
	.p2align	6, 0x0
	.amdhsa_kernel _ZL21dequantize_block_q4_1I6__halfEvPKvPT_i
		.amdhsa_group_segment_fixed_size 0
		.amdhsa_private_segment_fixed_size 0
		.amdhsa_kernarg_size 20
		.amdhsa_user_sgpr_count 2
		.amdhsa_user_sgpr_dispatch_ptr 0
		.amdhsa_user_sgpr_queue_ptr 0
		.amdhsa_user_sgpr_kernarg_segment_ptr 1
		.amdhsa_user_sgpr_dispatch_id 0
		.amdhsa_user_sgpr_kernarg_preload_length 0
		.amdhsa_user_sgpr_kernarg_preload_offset 0
		.amdhsa_user_sgpr_private_segment_size 0
		.amdhsa_uses_dynamic_stack 0
		.amdhsa_enable_private_segment 0
		.amdhsa_system_sgpr_workgroup_id_x 1
		.amdhsa_system_sgpr_workgroup_id_y 0
		.amdhsa_system_sgpr_workgroup_id_z 0
		.amdhsa_system_sgpr_workgroup_info 0
		.amdhsa_system_vgpr_workitem_id 0
		.amdhsa_next_free_vgpr 13
		.amdhsa_next_free_sgpr 8
		.amdhsa_accum_offset 16
		.amdhsa_reserve_vcc 1
		.amdhsa_float_round_mode_32 0
		.amdhsa_float_round_mode_16_64 0
		.amdhsa_float_denorm_mode_32 3
		.amdhsa_float_denorm_mode_16_64 3
		.amdhsa_dx10_clamp 1
		.amdhsa_ieee_mode 1
		.amdhsa_fp16_overflow 0
		.amdhsa_tg_split 0
		.amdhsa_exception_fp_ieee_invalid_op 0
		.amdhsa_exception_fp_denorm_src 0
		.amdhsa_exception_fp_ieee_div_zero 0
		.amdhsa_exception_fp_ieee_overflow 0
		.amdhsa_exception_fp_ieee_underflow 0
		.amdhsa_exception_fp_ieee_inexact 0
		.amdhsa_exception_int_div_zero 0
	.end_amdhsa_kernel
	.section	.text._ZL21dequantize_block_q4_1I6__halfEvPKvPT_i,"axG",@progbits,_ZL21dequantize_block_q4_1I6__halfEvPKvPT_i,comdat
.Lfunc_end3:
	.size	_ZL21dequantize_block_q4_1I6__halfEvPKvPT_i, .Lfunc_end3-_ZL21dequantize_block_q4_1I6__halfEvPKvPT_i
                                        ; -- End function
	.section	.AMDGPU.csdata,"",@progbits
; Kernel info:
; codeLenInByte = 344
; NumSgprs: 14
; NumVgprs: 13
; NumAgprs: 0
; TotalNumVgprs: 13
; ScratchSize: 0
; MemoryBound: 0
; FloatMode: 240
; IeeeMode: 1
; LDSByteSize: 0 bytes/workgroup (compile time only)
; SGPRBlocks: 1
; VGPRBlocks: 1
; NumSGPRsForWavesPerEU: 14
; NumVGPRsForWavesPerEU: 13
; AccumOffset: 16
; Occupancy: 8
; WaveLimiterHint : 0
; COMPUTE_PGM_RSRC2:SCRATCH_EN: 0
; COMPUTE_PGM_RSRC2:USER_SGPR: 2
; COMPUTE_PGM_RSRC2:TRAP_HANDLER: 0
; COMPUTE_PGM_RSRC2:TGID_X_EN: 1
; COMPUTE_PGM_RSRC2:TGID_Y_EN: 0
; COMPUTE_PGM_RSRC2:TGID_Z_EN: 0
; COMPUTE_PGM_RSRC2:TIDIG_COMP_CNT: 0
; COMPUTE_PGM_RSRC3_GFX90A:ACCUM_OFFSET: 3
; COMPUTE_PGM_RSRC3_GFX90A:TG_SPLIT: 0
	.section	.text._ZL21dequantize_block_q2_KI6__halfEvPKvPT_,"axG",@progbits,_ZL21dequantize_block_q2_KI6__halfEvPKvPT_,comdat
	.globl	_ZL21dequantize_block_q2_KI6__halfEvPKvPT_ ; -- Begin function _ZL21dequantize_block_q2_KI6__halfEvPKvPT_
	.p2align	8
	.type	_ZL21dequantize_block_q2_KI6__halfEvPKvPT_,@function
_ZL21dequantize_block_q2_KI6__halfEvPKvPT_: ; @_ZL21dequantize_block_q2_KI6__halfEvPKvPT_
; %bb.0:
	s_load_dwordx4 s[4:7], s[0:1], 0x0
	s_mul_i32 s0, s2, 0x54
	v_lshrrev_b32_e32 v2, 5, v0
	v_bfe_u32 v1, v0, 4, 1
	s_mul_hi_u32 s1, s2, 0x54
	s_waitcnt lgkmcnt(0)
	s_add_u32 s0, s4, s0
	v_lshl_or_b32 v1, v2, 3, v1
	s_addc_u32 s1, s5, s1
	global_load_ubyte v4, v1, s[0:1]
	global_load_ubyte v5, v0, s[0:1] offset:16
	global_load_ubyte v6, v1, s[0:1] offset:2
	;; [unrolled: 1-line block ×4, first 2 shown]
	s_load_dword s4, s[0:1], 0x50
	s_mov_b32 s3, 0
	s_lshl_b64 s[0:1], s[2:3], 9
	s_add_u32 s0, s6, s0
	v_mov_b32_e32 v1, 0
	v_and_b32_e32 v9, 31, v0
	v_lshlrev_b32_e32 v0, 8, v2
	s_addc_u32 s1, s7, s1
	v_lshl_add_u64 v[2:3], s[0:1], 0, v[0:1]
	v_lshlrev_b32_e32 v0, 1, v9
	s_waitcnt lgkmcnt(0)
	s_lshr_b32 s0, s4, 16
	v_lshl_add_u64 v[0:1], v[2:3], 0, v[0:1]
	v_cvt_f32_f16_e32 v2, s4
	v_cvt_f32_f16_e32 v3, s0
	s_waitcnt vmcnt(4)
	v_and_b32_e32 v9, 15, v4
	v_lshrrev_b32_e32 v4, 4, v4
	s_waitcnt vmcnt(3)
	v_and_b32_e32 v10, 3, v5
	s_waitcnt vmcnt(2)
	v_and_b32_e32 v11, 15, v6
	v_lshrrev_b32_e32 v6, 4, v6
	s_waitcnt vmcnt(1)
	v_and_b32_e32 v13, 15, v7
	v_lshrrev_b32_e32 v7, 4, v7
	s_waitcnt vmcnt(0)
	v_and_b32_e32 v15, 15, v8
	v_lshrrev_b32_e32 v8, 4, v8
	v_cvt_f32_ubyte0_e32 v9, v9
	v_cvt_f32_ubyte0_e32 v4, v4
	v_bfe_u32 v12, v5, 2, 2
	v_bfe_u32 v14, v5, 4, 2
	v_lshrrev_b32_e32 v5, 6, v5
	v_cvt_f32_ubyte0_e32 v10, v10
	v_cvt_f32_ubyte0_e32 v11, v11
	;; [unrolled: 1-line block ×7, first 2 shown]
	v_mul_f32_e32 v9, v2, v9
	v_mul_f32_e32 v4, v3, v4
	v_cvt_f32_ubyte0_e32 v12, v12
	v_cvt_f32_ubyte0_e32 v14, v14
	;; [unrolled: 1-line block ×3, first 2 shown]
	v_mul_f32_e32 v11, v2, v11
	v_mul_f32_e32 v6, v3, v6
	;; [unrolled: 1-line block ×6, first 2 shown]
	v_fma_mixlo_f16 v4, v9, v10, -v4
	v_fma_mixlo_f16 v6, v11, v12, -v6
	;; [unrolled: 1-line block ×4, first 2 shown]
	global_store_short v[0:1], v4, off
	global_store_short v[0:1], v6, off offset:64
	global_store_short v[0:1], v7, off offset:128
	global_store_short v[0:1], v2, off offset:192
	s_endpgm
	.section	.rodata,"a",@progbits
	.p2align	6, 0x0
	.amdhsa_kernel _ZL21dequantize_block_q2_KI6__halfEvPKvPT_
		.amdhsa_group_segment_fixed_size 0
		.amdhsa_private_segment_fixed_size 0
		.amdhsa_kernarg_size 16
		.amdhsa_user_sgpr_count 2
		.amdhsa_user_sgpr_dispatch_ptr 0
		.amdhsa_user_sgpr_queue_ptr 0
		.amdhsa_user_sgpr_kernarg_segment_ptr 1
		.amdhsa_user_sgpr_dispatch_id 0
		.amdhsa_user_sgpr_kernarg_preload_length 0
		.amdhsa_user_sgpr_kernarg_preload_offset 0
		.amdhsa_user_sgpr_private_segment_size 0
		.amdhsa_uses_dynamic_stack 0
		.amdhsa_enable_private_segment 0
		.amdhsa_system_sgpr_workgroup_id_x 1
		.amdhsa_system_sgpr_workgroup_id_y 0
		.amdhsa_system_sgpr_workgroup_id_z 0
		.amdhsa_system_sgpr_workgroup_info 0
		.amdhsa_system_vgpr_workitem_id 0
		.amdhsa_next_free_vgpr 16
		.amdhsa_next_free_sgpr 8
		.amdhsa_accum_offset 16
		.amdhsa_reserve_vcc 0
		.amdhsa_float_round_mode_32 0
		.amdhsa_float_round_mode_16_64 0
		.amdhsa_float_denorm_mode_32 3
		.amdhsa_float_denorm_mode_16_64 3
		.amdhsa_dx10_clamp 1
		.amdhsa_ieee_mode 1
		.amdhsa_fp16_overflow 0
		.amdhsa_tg_split 0
		.amdhsa_exception_fp_ieee_invalid_op 0
		.amdhsa_exception_fp_denorm_src 0
		.amdhsa_exception_fp_ieee_div_zero 0
		.amdhsa_exception_fp_ieee_overflow 0
		.amdhsa_exception_fp_ieee_underflow 0
		.amdhsa_exception_fp_ieee_inexact 0
		.amdhsa_exception_int_div_zero 0
	.end_amdhsa_kernel
	.section	.text._ZL21dequantize_block_q2_KI6__halfEvPKvPT_,"axG",@progbits,_ZL21dequantize_block_q2_KI6__halfEvPKvPT_,comdat
.Lfunc_end4:
	.size	_ZL21dequantize_block_q2_KI6__halfEvPKvPT_, .Lfunc_end4-_ZL21dequantize_block_q2_KI6__halfEvPKvPT_
                                        ; -- End function
	.section	.AMDGPU.csdata,"",@progbits
; Kernel info:
; codeLenInByte = 392
; NumSgprs: 14
; NumVgprs: 16
; NumAgprs: 0
; TotalNumVgprs: 16
; ScratchSize: 0
; MemoryBound: 0
; FloatMode: 240
; IeeeMode: 1
; LDSByteSize: 0 bytes/workgroup (compile time only)
; SGPRBlocks: 1
; VGPRBlocks: 1
; NumSGPRsForWavesPerEU: 14
; NumVGPRsForWavesPerEU: 16
; AccumOffset: 16
; Occupancy: 8
; WaveLimiterHint : 0
; COMPUTE_PGM_RSRC2:SCRATCH_EN: 0
; COMPUTE_PGM_RSRC2:USER_SGPR: 2
; COMPUTE_PGM_RSRC2:TRAP_HANDLER: 0
; COMPUTE_PGM_RSRC2:TGID_X_EN: 1
; COMPUTE_PGM_RSRC2:TGID_Y_EN: 0
; COMPUTE_PGM_RSRC2:TGID_Z_EN: 0
; COMPUTE_PGM_RSRC2:TIDIG_COMP_CNT: 0
; COMPUTE_PGM_RSRC3_GFX90A:ACCUM_OFFSET: 3
; COMPUTE_PGM_RSRC3_GFX90A:TG_SPLIT: 0
	.section	.text._ZL21dequantize_block_q3_KI6__halfEvPKvPT_,"axG",@progbits,_ZL21dequantize_block_q3_KI6__halfEvPKvPT_,comdat
	.globl	_ZL21dequantize_block_q3_KI6__halfEvPKvPT_ ; -- Begin function _ZL21dequantize_block_q3_KI6__halfEvPKvPT_
	.p2align	8
	.type	_ZL21dequantize_block_q3_KI6__halfEvPKvPT_,@function
_ZL21dequantize_block_q3_KI6__halfEvPKvPT_: ; @_ZL21dequantize_block_q3_KI6__halfEvPKvPT_
; %bb.0:
	v_lshrrev_b32_e32 v5, 5, v0
	v_lshrrev_b32_e32 v4, 3, v0
	v_lshlrev_b32_e32 v2, 2, v5
	v_sub_co_u32_e32 v6, vcc, v4, v2
	s_load_dwordx4 s[4:7], s[0:1], 0x0
	v_lshrrev_b32_e32 v1, 2, v0
	v_subb_co_u32_e64 v7, s[0:1], 0, 0, vcc
	v_mov_b32_e32 v11, 0
	v_and_b32_e32 v10, 0xf8, v1
	v_lshlrev_b64 v[2:3], 1, v[6:7]
	v_bfe_u32 v8, v0, 2, 1
	v_lshl_add_u64 v[12:13], v[2:3], 0, v[10:11]
	v_or_b32_e32 v10, v12, v8
	v_mov_b32_e32 v11, v13
	s_mov_b32 s3, 0
	v_cmp_lt_i64_e32 vcc, 3, v[10:11]
	s_mul_hi_u32 s12, s2, 0x6e
	s_mul_i32 s13, s2, 0x6e
                                        ; implicit-def: $vgpr3
                                        ; implicit-def: $vgpr14
	s_and_saveexec_b64 s[0:1], vcc
	s_xor_b64 s[0:1], exec, s[0:1]
	s_cbranch_execz .LBB5_10
; %bb.1:
	v_cmp_lt_u64_e32 vcc, 7, v[12:13]
                                        ; implicit-def: $vgpr3
                                        ; implicit-def: $vgpr14
	s_and_saveexec_b64 s[8:9], vcc
	s_xor_b64 s[8:9], exec, s[8:9]
	s_cbranch_execz .LBB5_7
; %bb.2:
	s_waitcnt lgkmcnt(0)
	s_add_u32 s10, s4, s13
	s_addc_u32 s11, s5, s12
	s_add_u32 s10, s10, 0x60
	s_addc_u32 s11, s11, 0
	v_lshl_add_u64 v[10:11], s[10:11], 0, v[10:11]
	global_load_ubyte v1, v[10:11], off offset:-8
	v_cmp_lt_u64_e32 vcc, 11, v[12:13]
                                        ; implicit-def: $vgpr14
	s_waitcnt vmcnt(0)
	v_lshrrev_b16_e32 v3, 4, v1
	s_and_saveexec_b64 s[10:11], vcc
	s_xor_b64 s[10:11], exec, s[10:11]
	s_cbranch_execz .LBB5_4
; %bb.3:
	global_load_ubyte v1, v[10:11], off offset:-4
                                        ; implicit-def: $vgpr10_vgpr11
	s_waitcnt vmcnt(0)
	v_lshrrev_b16_e32 v14, 2, v1
.LBB5_4:
	s_andn2_saveexec_b64 s[10:11], s[10:11]
	s_cbranch_execz .LBB5_6
; %bb.5:
	global_load_ubyte v14, v[10:11], off
.LBB5_6:
	s_or_b64 exec, exec, s[10:11]
                                        ; implicit-def: $vgpr10_vgpr11
.LBB5_7:
	s_andn2_saveexec_b64 s[8:9], s[8:9]
	s_cbranch_execz .LBB5_9
; %bb.8:
	s_waitcnt lgkmcnt(0)
	s_add_u32 s10, s4, s13
	s_addc_u32 s11, s5, s12
	v_lshl_add_u64 v[10:11], s[10:11], 0, v[10:11]
	global_load_ubyte v1, v[10:11], off offset:96
	global_load_ubyte v9, v[10:11], off offset:100
	s_waitcnt vmcnt(1)
	v_and_b32_e32 v3, 15, v1
	s_waitcnt vmcnt(0)
	v_lshlrev_b16_e32 v14, 2, v9
.LBB5_9:
	s_or_b64 exec, exec, s[8:9]
                                        ; implicit-def: $vgpr10_vgpr11
.LBB5_10:
	s_andn2_saveexec_b64 s[0:1], s[0:1]
	s_cbranch_execz .LBB5_12
; %bb.11:
	s_waitcnt lgkmcnt(0)
	s_add_u32 s8, s4, s13
	s_addc_u32 s9, s5, s12
	v_lshl_add_u64 v[10:11], s[8:9], 0, v[10:11]
	global_load_ubyte v1, v[10:11], off offset:96
	global_load_ubyte v9, v[10:11], off offset:104
	s_waitcnt vmcnt(1)
	v_and_b32_e32 v3, 15, v1
	s_waitcnt vmcnt(0)
	v_lshlrev_b16_e32 v14, 4, v9
.LBB5_12:
	s_or_b64 exec, exec, s[0:1]
	v_lshlrev_b32_e32 v0, 2, v0
	v_and_b32_e32 v0, 12, v0
	v_mov_b32_e32 v1, 0
	s_waitcnt lgkmcnt(0)
	s_add_u32 s0, s4, s13
	v_lshl_or_b32 v0, v8, 4, v0
	s_addc_u32 s1, s5, s12
	v_lshlrev_b32_e32 v8, 5, v5
	v_mov_b32_e32 v9, v1
	v_lshl_add_u64 v[8:9], s[0:1], 0, v[8:9]
	v_lshl_add_u64 v[10:11], v[8:9], 0, v[0:1]
	global_load_ushort v15, v1, s[0:1] offset:108
	global_load_ubyte v16, v[10:11], off offset:32
	global_load_ubyte v17, v0, s[0:1]
	v_lshlrev_b32_e64 v10, v4, 1
	s_waitcnt vmcnt(3)
	v_and_b32_e32 v11, 48, v14
	v_mov_b32_e32 v12, 32
	v_or_b32_e32 v3, v11, v3
	v_sub_u32_sdwa v3, v3, v12 dst_sel:DWORD dst_unused:UNUSED_PAD src0_sel:BYTE_0 src1_sel:DWORD
	s_lshl_b64 s[2:3], s[2:3], 9
	v_cvt_f32_i32_e32 v3, v3
	s_add_u32 s2, s6, s2
	v_lshlrev_b32_e32 v4, 8, v5
	v_mov_b32_e32 v5, v1
	s_addc_u32 s3, s7, s3
	v_lshlrev_b64 v[6:7], 6, v[6:7]
	v_lshl_add_u64 v[4:5], s[2:3], 0, v[4:5]
	v_mov_b32_e32 v13, v1
	v_add_u32_e32 v11, 4, v0
	v_lshlrev_b32_e32 v12, 1, v0
	v_or_b32_e32 v14, 1, v0
	v_lshl_add_u64 v[4:5], v[4:5], 0, v[6:7]
	v_lshl_add_u64 v[4:5], v[4:5], 0, v[12:13]
	s_waitcnt vmcnt(2)
	v_cvt_f32_f16_e32 v15, v15
	s_waitcnt vmcnt(1)
	v_lshrrev_b32_e32 v16, v2, v16
	s_waitcnt vmcnt(0)
	v_and_b32_e32 v17, v10, v17
	v_cmp_eq_u32_e32 vcc, 0, v17
	v_mul_f32_e32 v3, v15, v3
	s_nop 0
	v_cndmask_b32_e64 v17, 0, -4, vcc
	v_and_or_b32 v16, v16, 3, v17
	v_cvt_f32_i32_e32 v16, v16
	v_cmp_gt_u32_e32 vcc, v11, v14
	v_fma_mixlo_f16 v6, v3, v16, 0
	global_store_short v[4:5], v6, off
	s_and_saveexec_b64 s[2:3], vcc
	s_cbranch_execz .LBB5_14
; %bb.13:
	v_lshl_add_u64 v[8:9], v[8:9], 0, 32
	global_load_ubyte v11, v0, s[0:1] offset:1
	v_lshl_add_u64 v[8:9], v[8:9], 0, v[0:1]
	v_lshl_add_u64 v[6:7], s[0:1], 0, v[0:1]
	global_load_ubyte v0, v[8:9], off offset:1
	global_load_ushort v12, v[8:9], off offset:2
	global_load_ushort v13, v[6:7], off offset:2
	s_waitcnt vmcnt(3)
	v_and_b32_e32 v6, v10, v11
	v_cmp_eq_u32_e32 vcc, 0, v6
	s_waitcnt vmcnt(2)
	v_lshrrev_b32_e32 v0, v2, v0
	s_waitcnt vmcnt(0)
	v_and_b32_e32 v8, v13, v10
	v_cndmask_b32_e64 v6, 0, -4, vcc
	v_and_b32_sdwa v9, v10, v13 dst_sel:DWORD dst_unused:UNUSED_PAD src0_sel:DWORD src1_sel:BYTE_1
	v_cmp_eq_u32_sdwa s[0:1], v8, v1 src0_sel:BYTE_0 src1_sel:DWORD
	v_lshrrev_b32_sdwa v7, v2, v12 dst_sel:DWORD dst_unused:UNUSED_PAD src0_sel:DWORD src1_sel:BYTE_0
	v_and_or_b32 v0, v0, 3, v6
	v_cndmask_b32_e64 v1, 0, -4, s[0:1]
	v_cmp_eq_u32_e32 vcc, 0, v9
	v_lshrrev_b32_sdwa v2, v2, v12 dst_sel:DWORD dst_unused:UNUSED_PAD src0_sel:DWORD src1_sel:BYTE_1
	v_cvt_f32_i32_e32 v0, v0
	v_cndmask_b32_e64 v6, 0, -4, vcc
	v_and_or_b32 v1, v7, 3, v1
	v_and_or_b32 v2, v2, 3, v6
	v_cvt_f32_i32_e32 v1, v1
	v_cvt_f32_i32_e32 v2, v2
	v_fma_mixlo_f16 v0, v3, v0, 0
	global_store_short v[4:5], v0, off offset:2
	v_fma_mixlo_f16 v0, v3, v1, 0
	v_fma_mixhi_f16 v0, v3, v2, 0
	global_store_dword v[4:5], v0, off offset:4
.LBB5_14:
	s_endpgm
	.section	.rodata,"a",@progbits
	.p2align	6, 0x0
	.amdhsa_kernel _ZL21dequantize_block_q3_KI6__halfEvPKvPT_
		.amdhsa_group_segment_fixed_size 0
		.amdhsa_private_segment_fixed_size 0
		.amdhsa_kernarg_size 16
		.amdhsa_user_sgpr_count 2
		.amdhsa_user_sgpr_dispatch_ptr 0
		.amdhsa_user_sgpr_queue_ptr 0
		.amdhsa_user_sgpr_kernarg_segment_ptr 1
		.amdhsa_user_sgpr_dispatch_id 0
		.amdhsa_user_sgpr_kernarg_preload_length 0
		.amdhsa_user_sgpr_kernarg_preload_offset 0
		.amdhsa_user_sgpr_private_segment_size 0
		.amdhsa_uses_dynamic_stack 0
		.amdhsa_enable_private_segment 0
		.amdhsa_system_sgpr_workgroup_id_x 1
		.amdhsa_system_sgpr_workgroup_id_y 0
		.amdhsa_system_sgpr_workgroup_id_z 0
		.amdhsa_system_sgpr_workgroup_info 0
		.amdhsa_system_vgpr_workitem_id 0
		.amdhsa_next_free_vgpr 18
		.amdhsa_next_free_sgpr 14
		.amdhsa_accum_offset 20
		.amdhsa_reserve_vcc 1
		.amdhsa_float_round_mode_32 0
		.amdhsa_float_round_mode_16_64 0
		.amdhsa_float_denorm_mode_32 3
		.amdhsa_float_denorm_mode_16_64 3
		.amdhsa_dx10_clamp 1
		.amdhsa_ieee_mode 1
		.amdhsa_fp16_overflow 0
		.amdhsa_tg_split 0
		.amdhsa_exception_fp_ieee_invalid_op 0
		.amdhsa_exception_fp_denorm_src 0
		.amdhsa_exception_fp_ieee_div_zero 0
		.amdhsa_exception_fp_ieee_overflow 0
		.amdhsa_exception_fp_ieee_underflow 0
		.amdhsa_exception_fp_ieee_inexact 0
		.amdhsa_exception_int_div_zero 0
	.end_amdhsa_kernel
	.section	.text._ZL21dequantize_block_q3_KI6__halfEvPKvPT_,"axG",@progbits,_ZL21dequantize_block_q3_KI6__halfEvPKvPT_,comdat
.Lfunc_end5:
	.size	_ZL21dequantize_block_q3_KI6__halfEvPKvPT_, .Lfunc_end5-_ZL21dequantize_block_q3_KI6__halfEvPKvPT_
                                        ; -- End function
	.section	.AMDGPU.csdata,"",@progbits
; Kernel info:
; codeLenInByte = 852
; NumSgprs: 20
; NumVgprs: 18
; NumAgprs: 0
; TotalNumVgprs: 18
; ScratchSize: 0
; MemoryBound: 0
; FloatMode: 240
; IeeeMode: 1
; LDSByteSize: 0 bytes/workgroup (compile time only)
; SGPRBlocks: 2
; VGPRBlocks: 2
; NumSGPRsForWavesPerEU: 20
; NumVGPRsForWavesPerEU: 18
; AccumOffset: 20
; Occupancy: 8
; WaveLimiterHint : 0
; COMPUTE_PGM_RSRC2:SCRATCH_EN: 0
; COMPUTE_PGM_RSRC2:USER_SGPR: 2
; COMPUTE_PGM_RSRC2:TRAP_HANDLER: 0
; COMPUTE_PGM_RSRC2:TGID_X_EN: 1
; COMPUTE_PGM_RSRC2:TGID_Y_EN: 0
; COMPUTE_PGM_RSRC2:TGID_Z_EN: 0
; COMPUTE_PGM_RSRC2:TIDIG_COMP_CNT: 0
; COMPUTE_PGM_RSRC3_GFX90A:ACCUM_OFFSET: 4
; COMPUTE_PGM_RSRC3_GFX90A:TG_SPLIT: 0
	.section	.text._ZL21dequantize_block_q4_KI6__halfEvPKvPT_,"axG",@progbits,_ZL21dequantize_block_q4_KI6__halfEvPKvPT_,comdat
	.globl	_ZL21dequantize_block_q4_KI6__halfEvPKvPT_ ; -- Begin function _ZL21dequantize_block_q4_KI6__halfEvPKvPT_
	.p2align	8
	.type	_ZL21dequantize_block_q4_KI6__halfEvPKvPT_,@function
_ZL21dequantize_block_q4_KI6__halfEvPKvPT_: ; @_ZL21dequantize_block_q4_KI6__halfEvPKvPT_
; %bb.0:
	s_load_dwordx2 s[4:5], s[0:1], 0x0
	s_mul_i32 s6, s2, 0x90
	v_lshrrev_b32_e32 v1, 3, v0
	s_mul_hi_u32 s7, s2, 0x90
	v_mov_b32_e32 v5, 0
	s_waitcnt lgkmcnt(0)
	s_add_u32 s6, s4, s6
	v_lshlrev_b32_e32 v4, 1, v1
	s_addc_u32 s7, s5, s7
	s_mov_b32 s3, 0
	v_cmp_lt_u32_e32 vcc, 15, v0
	v_lshl_add_u64 v[2:3], s[6:7], 0, v[4:5]
                                        ; implicit-def: $vgpr7
                                        ; implicit-def: $vgpr6
	s_and_saveexec_b64 s[4:5], vcc
	s_xor_b64 s[4:5], exec, s[4:5]
	s_cbranch_execz .LBB6_2
; %bb.1:
	global_load_ubyte v6, v[2:3], off offset:8
	global_load_ubyte v7, v[2:3], off
	global_load_ubyte v8, v[2:3], off offset:4
	s_waitcnt vmcnt(2)
	v_and_b32_e32 v9, 15, v6
	s_waitcnt vmcnt(1)
	v_lshrrev_b16_e32 v7, 2, v7
	v_lshrrev_b16_e32 v10, 4, v6
	s_waitcnt vmcnt(0)
	v_lshrrev_b16_e32 v6, 2, v8
	v_and_b32_e32 v7, 48, v7
	v_and_b32_e32 v8, 48, v6
	v_or_b32_e32 v6, v7, v9
	v_or_b32_e32 v7, v8, v10
.LBB6_2:
	s_andn2_saveexec_b64 s[4:5], s[4:5]
	s_cbranch_execz .LBB6_4
; %bb.3:
	global_load_ubyte v6, v[2:3], off offset:4
	global_load_ubyte v7, v[2:3], off offset:8
	s_waitcnt vmcnt(1)
	v_and_b32_e32 v6, 63, v6
	s_waitcnt vmcnt(0)
	v_and_b32_e32 v7, 63, v7
.LBB6_4:
	s_or_b64 exec, exec, s[4:5]
	s_load_dwordx2 s[4:5], s[0:1], 0x8
	s_load_dword s8, s[6:7], 0x0
	s_add_u32 s0, s6, 4
	s_addc_u32 s1, s7, 0
	v_lshl_add_u64 v[4:5], s[0:1], 0, v[4:5]
                                        ; implicit-def: $vgpr9
                                        ; implicit-def: $vgpr8
	s_and_saveexec_b64 s[0:1], vcc
	s_xor_b64 s[0:1], exec, s[0:1]
	s_cbranch_execz .LBB6_6
; %bb.5:
	global_load_ubyte v8, v[4:5], off offset:5
	global_load_ubyte v9, v[4:5], off offset:-3
	global_load_ubyte v10, v[4:5], off offset:1
	s_waitcnt vmcnt(2)
	v_and_b32_e32 v4, 15, v8
	s_waitcnt vmcnt(1)
	v_lshrrev_b16_e32 v5, 2, v9
	v_lshrrev_b16_e32 v9, 4, v8
	s_waitcnt vmcnt(0)
	v_lshrrev_b16_e32 v8, 2, v10
	v_and_b32_e32 v5, 48, v5
	v_and_b32_e32 v10, 48, v8
	v_or_b32_e32 v8, v5, v4
	v_or_b32_e32 v9, v10, v9
                                        ; implicit-def: $vgpr4_vgpr5
.LBB6_6:
	s_andn2_saveexec_b64 s[0:1], s[0:1]
	s_cbranch_execz .LBB6_8
; %bb.7:
	global_load_ubyte v8, v[4:5], off offset:1
	global_load_ubyte v9, v[4:5], off offset:5
	s_waitcnt vmcnt(1)
	v_and_b32_e32 v8, 63, v8
	s_waitcnt vmcnt(0)
	v_and_b32_e32 v9, 63, v9
.LBB6_8:
	s_or_b64 exec, exec, s[0:1]
	v_lshlrev_b32_e32 v0, 2, v0
	v_mad_u64_u32 v[2:3], s[0:1], v1, 30, v[2:3]
	v_and_b32_e32 v4, 28, v0
	v_mov_b32_e32 v5, 0
	v_lshl_add_u64 v[2:3], v[2:3], 0, v[4:5]
	global_load_dword v2, v[2:3], off offset:16
	s_waitcnt lgkmcnt(0)
	s_lshr_b32 s6, s8, 16
	v_cvt_f32_ubyte0_e32 v3, v7
	v_cvt_f32_f16_e32 v7, s8
	s_lshl_b64 s[0:1], s[2:3], 9
	v_cvt_f32_f16_e32 v11, s6
	s_add_u32 s0, s4, s0
	v_lshlrev_b32_e32 v0, 7, v1
	v_mov_b32_e32 v1, v5
	s_addc_u32 s1, s5, s1
	v_cvt_f32_ubyte0_e32 v6, v6
	v_cvt_f32_ubyte0_e32 v8, v8
	v_lshlrev_b32_e32 v4, 1, v4
	v_lshl_add_u64 v[0:1], s[0:1], 0, v[0:1]
	v_cvt_f32_ubyte0_e32 v9, v9
	v_mov_b32_e32 v10, 4
	v_mul_f32_e32 v6, v7, v6
	v_lshl_add_u64 v[0:1], v[0:1], 0, v[4:5]
	v_mul_f32_e32 v7, v7, v8
	v_mul_f32_e32 v8, v11, v3
	;; [unrolled: 1-line block ×3, first 2 shown]
	s_waitcnt vmcnt(0)
	v_lshrrev_b32_e32 v3, 8, v2
	v_and_b32_e32 v4, 15, v2
	v_lshrrev_b16_e32 v5, 4, v2
	v_bfe_u32 v11, v2, 8, 4
	v_bfe_u32 v12, v2, 16, 4
	v_bfe_u32 v13, v2, 20, 4
	v_bfe_u32 v14, v2, 24, 4
	v_lshrrev_b16_sdwa v2, v10, v2 dst_sel:DWORD dst_unused:UNUSED_PAD src0_sel:DWORD src1_sel:BYTE_3
	v_cvt_f32_ubyte0_e32 v4, v4
	v_and_b32_e32 v5, 15, v5
	v_lshrrev_b16_e32 v3, 4, v3
	v_cvt_f32_ubyte0_e32 v10, v11
	v_cvt_f32_ubyte0_e32 v11, v12
	;; [unrolled: 1-line block ×5, first 2 shown]
	v_fma_mixlo_f16 v2, v6, v4, -v8
	v_cvt_f32_ubyte0_e32 v4, v5
	v_and_b32_e32 v15, 15, v3
	v_fma_mixlo_f16 v3, v6, v11, -v8
	v_fma_mixlo_f16 v5, v7, v12, -v9
	;; [unrolled: 1-line block ×3, first 2 shown]
	v_cvt_f32_ubyte0_e32 v11, v15
	v_fma_mixhi_f16 v3, v6, v13, -v8
	v_fma_mixhi_f16 v2, v6, v10, -v8
	;; [unrolled: 1-line block ×4, first 2 shown]
	global_store_dwordx2 v[0:1], v[2:3], off
	global_store_dwordx2 v[0:1], v[4:5], off offset:64
	s_endpgm
	.section	.rodata,"a",@progbits
	.p2align	6, 0x0
	.amdhsa_kernel _ZL21dequantize_block_q4_KI6__halfEvPKvPT_
		.amdhsa_group_segment_fixed_size 0
		.amdhsa_private_segment_fixed_size 0
		.amdhsa_kernarg_size 16
		.amdhsa_user_sgpr_count 2
		.amdhsa_user_sgpr_dispatch_ptr 0
		.amdhsa_user_sgpr_queue_ptr 0
		.amdhsa_user_sgpr_kernarg_segment_ptr 1
		.amdhsa_user_sgpr_dispatch_id 0
		.amdhsa_user_sgpr_kernarg_preload_length 0
		.amdhsa_user_sgpr_kernarg_preload_offset 0
		.amdhsa_user_sgpr_private_segment_size 0
		.amdhsa_uses_dynamic_stack 0
		.amdhsa_enable_private_segment 0
		.amdhsa_system_sgpr_workgroup_id_x 1
		.amdhsa_system_sgpr_workgroup_id_y 0
		.amdhsa_system_sgpr_workgroup_id_z 0
		.amdhsa_system_sgpr_workgroup_info 0
		.amdhsa_system_vgpr_workitem_id 0
		.amdhsa_next_free_vgpr 16
		.amdhsa_next_free_sgpr 9
		.amdhsa_accum_offset 16
		.amdhsa_reserve_vcc 1
		.amdhsa_float_round_mode_32 0
		.amdhsa_float_round_mode_16_64 0
		.amdhsa_float_denorm_mode_32 3
		.amdhsa_float_denorm_mode_16_64 3
		.amdhsa_dx10_clamp 1
		.amdhsa_ieee_mode 1
		.amdhsa_fp16_overflow 0
		.amdhsa_tg_split 0
		.amdhsa_exception_fp_ieee_invalid_op 0
		.amdhsa_exception_fp_denorm_src 0
		.amdhsa_exception_fp_ieee_div_zero 0
		.amdhsa_exception_fp_ieee_overflow 0
		.amdhsa_exception_fp_ieee_underflow 0
		.amdhsa_exception_fp_ieee_inexact 0
		.amdhsa_exception_int_div_zero 0
	.end_amdhsa_kernel
	.section	.text._ZL21dequantize_block_q4_KI6__halfEvPKvPT_,"axG",@progbits,_ZL21dequantize_block_q4_KI6__halfEvPKvPT_,comdat
.Lfunc_end6:
	.size	_ZL21dequantize_block_q4_KI6__halfEvPKvPT_, .Lfunc_end6-_ZL21dequantize_block_q4_KI6__halfEvPKvPT_
                                        ; -- End function
	.section	.AMDGPU.csdata,"",@progbits
; Kernel info:
; codeLenInByte = 656
; NumSgprs: 15
; NumVgprs: 16
; NumAgprs: 0
; TotalNumVgprs: 16
; ScratchSize: 0
; MemoryBound: 0
; FloatMode: 240
; IeeeMode: 1
; LDSByteSize: 0 bytes/workgroup (compile time only)
; SGPRBlocks: 1
; VGPRBlocks: 1
; NumSGPRsForWavesPerEU: 15
; NumVGPRsForWavesPerEU: 16
; AccumOffset: 16
; Occupancy: 8
; WaveLimiterHint : 0
; COMPUTE_PGM_RSRC2:SCRATCH_EN: 0
; COMPUTE_PGM_RSRC2:USER_SGPR: 2
; COMPUTE_PGM_RSRC2:TRAP_HANDLER: 0
; COMPUTE_PGM_RSRC2:TGID_X_EN: 1
; COMPUTE_PGM_RSRC2:TGID_Y_EN: 0
; COMPUTE_PGM_RSRC2:TGID_Z_EN: 0
; COMPUTE_PGM_RSRC2:TIDIG_COMP_CNT: 0
; COMPUTE_PGM_RSRC3_GFX90A:ACCUM_OFFSET: 3
; COMPUTE_PGM_RSRC3_GFX90A:TG_SPLIT: 0
	.section	.text._ZL21dequantize_block_q5_KI6__halfEvPKvPT_,"axG",@progbits,_ZL21dequantize_block_q5_KI6__halfEvPKvPT_,comdat
	.globl	_ZL21dequantize_block_q5_KI6__halfEvPKvPT_ ; -- Begin function _ZL21dequantize_block_q5_KI6__halfEvPKvPT_
	.p2align	8
	.type	_ZL21dequantize_block_q5_KI6__halfEvPKvPT_,@function
_ZL21dequantize_block_q5_KI6__halfEvPKvPT_: ; @_ZL21dequantize_block_q5_KI6__halfEvPKvPT_
; %bb.0:
	s_load_dwordx2 s[4:5], s[0:1], 0x0
	s_mul_i32 s7, s2, 0xb0
	v_lshrrev_b32_e32 v1, 4, v0
	s_mul_hi_u32 s6, s2, 0xb0
	v_mov_b32_e32 v3, 0
	s_waitcnt lgkmcnt(0)
	s_add_u32 s4, s4, s7
	v_lshlrev_b32_e32 v2, 1, v1
	s_addc_u32 s5, s5, s6
	s_mov_b32 s3, 0
	v_cmp_lt_u32_e32 vcc, 31, v0
	v_lshl_add_u64 v[4:5], s[4:5], 0, v[2:3]
                                        ; implicit-def: $vgpr9
                                        ; implicit-def: $vgpr8
	s_and_saveexec_b64 s[6:7], vcc
	s_xor_b64 s[6:7], exec, s[6:7]
	s_cbranch_execz .LBB7_2
; %bb.1:
	global_load_ubyte v6, v[4:5], off offset:8
	global_load_ubyte v7, v[4:5], off
	global_load_ubyte v8, v[4:5], off offset:4
	s_waitcnt vmcnt(2)
	v_and_b32_e32 v9, 15, v6
	s_waitcnt vmcnt(1)
	v_lshrrev_b16_e32 v7, 2, v7
	s_waitcnt vmcnt(0)
	v_lshrrev_b16_e32 v8, 2, v8
	v_lshrrev_b16_e32 v6, 4, v6
	v_and_b32_e32 v7, 48, v7
	v_and_b32_e32 v10, 48, v8
	v_or_b32_e32 v8, v7, v9
	v_or_b32_e32 v9, v10, v6
.LBB7_2:
	s_andn2_saveexec_b64 s[6:7], s[6:7]
	s_cbranch_execz .LBB7_4
; %bb.3:
	global_load_ubyte v6, v[4:5], off offset:4
	global_load_ubyte v7, v[4:5], off offset:8
	s_waitcnt vmcnt(1)
	v_and_b32_e32 v8, 63, v6
	s_waitcnt vmcnt(0)
	v_and_b32_e32 v9, 63, v7
.LBB7_4:
	s_or_b64 exec, exec, s[6:7]
	s_load_dwordx2 s[6:7], s[0:1], 0x8
	s_load_dword s8, s[4:5], 0x0
	s_add_u32 s0, s4, 4
	s_addc_u32 s1, s5, 0
	v_lshl_add_u64 v[6:7], s[0:1], 0, v[2:3]
                                        ; implicit-def: $vgpr10
                                        ; implicit-def: $vgpr3
	s_and_saveexec_b64 s[0:1], vcc
	s_xor_b64 s[0:1], exec, s[0:1]
	s_cbranch_execz .LBB7_6
; %bb.5:
	global_load_ubyte v3, v[6:7], off offset:5
	global_load_ubyte v10, v[6:7], off offset:-3
	global_load_ubyte v11, v[6:7], off offset:1
	s_waitcnt vmcnt(2)
	v_and_b32_e32 v6, 15, v3
	s_waitcnt vmcnt(1)
	v_lshrrev_b16_e32 v7, 2, v10
	v_lshrrev_b16_e32 v10, 4, v3
	s_waitcnt vmcnt(0)
	v_lshrrev_b16_e32 v3, 2, v11
	v_and_b32_e32 v7, 48, v7
	v_and_b32_e32 v11, 48, v3
	v_or_b32_e32 v3, v7, v6
	v_or_b32_e32 v10, v11, v10
                                        ; implicit-def: $vgpr6_vgpr7
.LBB7_6:
	s_andn2_saveexec_b64 s[0:1], s[0:1]
	s_cbranch_execz .LBB7_8
; %bb.7:
	global_load_ubyte v3, v[6:7], off offset:1
	global_load_ubyte v10, v[6:7], off offset:5
	s_waitcnt vmcnt(1)
	v_and_b32_e32 v3, 63, v3
	s_waitcnt vmcnt(0)
	v_and_b32_e32 v10, 63, v10
.LBB7_8:
	s_or_b64 exec, exec, s[0:1]
	v_lshlrev_b32_e32 v0, 1, v0
	v_and_b32_e32 v6, 30, v0
	v_mov_b32_e32 v7, 0
	v_mad_u64_u32 v[4:5], s[0:1], v1, 30, v[4:5]
	v_lshl_add_u64 v[4:5], v[4:5], 0, v[6:7]
	global_load_ushort v11, v[4:5], off offset:48
	global_load_ushort v12, v6, s[4:5] offset:16
	s_waitcnt lgkmcnt(0)
	s_lshr_b32 s4, s8, 16
	s_lshl_b64 s[0:1], s[2:3], 9
	s_add_u32 s0, s6, s0
	v_cvt_f32_f16_e32 v5, s8
	v_lshlrev_b32_e32 v0, 7, v1
	v_cvt_f32_f16_e32 v14, s4
	v_mov_b32_e32 v1, v7
	s_addc_u32 s1, s7, s1
	v_cvt_f32_ubyte0_e32 v4, v9
	v_cvt_f32_ubyte0_e32 v9, v10
	v_lshlrev_b32_e64 v10, v2, 1
	v_lshlrev_b32_e32 v6, 1, v6
	v_lshl_add_u64 v[0:1], s[0:1], 0, v[0:1]
	v_lshl_add_u64 v[0:1], v[0:1], 0, v[6:7]
	v_cvt_f32_ubyte0_e32 v8, v8
	v_cvt_f32_ubyte0_e32 v3, v3
	v_lshlrev_b32_e64 v2, v2, 2
	v_mov_b32_e32 v13, 15
	v_mul_f32_e32 v8, v5, v8
	v_mul_f32_e32 v3, v5, v3
	;; [unrolled: 1-line block ×4, first 2 shown]
	s_waitcnt vmcnt(1)
	v_and_b32_e32 v6, 15, v11
	s_waitcnt vmcnt(0)
	v_and_b32_sdwa v7, v10, v12 dst_sel:DWORD dst_unused:UNUSED_PAD src0_sel:DWORD src1_sel:BYTE_0
	v_and_b32_sdwa v10, v10, v12 dst_sel:DWORD dst_unused:UNUSED_PAD src0_sel:DWORD src1_sel:BYTE_1
	v_cmp_ne_u32_e32 vcc, 0, v7
	v_and_b32_sdwa v14, v2, v12 dst_sel:DWORD dst_unused:UNUSED_PAD src0_sel:DWORD src1_sel:BYTE_0
	v_and_b32_sdwa v9, v11, v13 dst_sel:DWORD dst_unused:UNUSED_PAD src0_sel:BYTE_1 src1_sel:DWORD
	v_cndmask_b32_e64 v7, 0, 1, vcc
	v_cmp_ne_u32_e32 vcc, 0, v10
	v_lshrrev_b16_e32 v13, 4, v11
	v_and_b32_sdwa v2, v2, v12 dst_sel:DWORD dst_unused:UNUSED_PAD src0_sel:DWORD src1_sel:BYTE_1
	v_cndmask_b32_e64 v10, 0, 1, vcc
	v_cmp_ne_u32_e32 vcc, 0, v14
	v_and_b32_e32 v12, 15, v13
	v_lshl_or_b32 v6, v7, 4, v6
	v_cndmask_b32_e64 v13, 0, 1, vcc
	v_cmp_ne_u32_e32 vcc, 0, v2
	v_lshrrev_b16_e32 v11, 12, v11
	v_lshl_or_b32 v7, v10, 4, v9
	v_cndmask_b32_e64 v2, 0, 1, vcc
	v_lshl_or_b32 v9, v13, 4, v12
	v_cvt_f32_ubyte0_e32 v6, v6
	v_lshl_or_b32 v2, v2, 4, v11
	v_cvt_f32_ubyte0_e32 v7, v7
	v_cvt_f32_ubyte0_e32 v9, v9
	v_fma_mixlo_f16 v6, v8, v6, -v4
	v_cvt_f32_ubyte0_e32 v2, v2
	v_fma_mixlo_f16 v9, v3, v9, -v5
	v_fma_mixhi_f16 v6, v8, v7, -v4
	v_fma_mixhi_f16 v9, v3, v2, -v5
	global_store_dword v[0:1], v6, off
	global_store_dword v[0:1], v9, off offset:64
	s_endpgm
	.section	.rodata,"a",@progbits
	.p2align	6, 0x0
	.amdhsa_kernel _ZL21dequantize_block_q5_KI6__halfEvPKvPT_
		.amdhsa_group_segment_fixed_size 0
		.amdhsa_private_segment_fixed_size 0
		.amdhsa_kernarg_size 16
		.amdhsa_user_sgpr_count 2
		.amdhsa_user_sgpr_dispatch_ptr 0
		.amdhsa_user_sgpr_queue_ptr 0
		.amdhsa_user_sgpr_kernarg_segment_ptr 1
		.amdhsa_user_sgpr_dispatch_id 0
		.amdhsa_user_sgpr_kernarg_preload_length 0
		.amdhsa_user_sgpr_kernarg_preload_offset 0
		.amdhsa_user_sgpr_private_segment_size 0
		.amdhsa_uses_dynamic_stack 0
		.amdhsa_enable_private_segment 0
		.amdhsa_system_sgpr_workgroup_id_x 1
		.amdhsa_system_sgpr_workgroup_id_y 0
		.amdhsa_system_sgpr_workgroup_id_z 0
		.amdhsa_system_sgpr_workgroup_info 0
		.amdhsa_system_vgpr_workitem_id 0
		.amdhsa_next_free_vgpr 15
		.amdhsa_next_free_sgpr 9
		.amdhsa_accum_offset 16
		.amdhsa_reserve_vcc 1
		.amdhsa_float_round_mode_32 0
		.amdhsa_float_round_mode_16_64 0
		.amdhsa_float_denorm_mode_32 3
		.amdhsa_float_denorm_mode_16_64 3
		.amdhsa_dx10_clamp 1
		.amdhsa_ieee_mode 1
		.amdhsa_fp16_overflow 0
		.amdhsa_tg_split 0
		.amdhsa_exception_fp_ieee_invalid_op 0
		.amdhsa_exception_fp_denorm_src 0
		.amdhsa_exception_fp_ieee_div_zero 0
		.amdhsa_exception_fp_ieee_overflow 0
		.amdhsa_exception_fp_ieee_underflow 0
		.amdhsa_exception_fp_ieee_inexact 0
		.amdhsa_exception_int_div_zero 0
	.end_amdhsa_kernel
	.section	.text._ZL21dequantize_block_q5_KI6__halfEvPKvPT_,"axG",@progbits,_ZL21dequantize_block_q5_KI6__halfEvPKvPT_,comdat
.Lfunc_end7:
	.size	_ZL21dequantize_block_q5_KI6__halfEvPKvPT_, .Lfunc_end7-_ZL21dequantize_block_q5_KI6__halfEvPKvPT_
                                        ; -- End function
	.section	.AMDGPU.csdata,"",@progbits
; Kernel info:
; codeLenInByte = 708
; NumSgprs: 15
; NumVgprs: 15
; NumAgprs: 0
; TotalNumVgprs: 15
; ScratchSize: 0
; MemoryBound: 0
; FloatMode: 240
; IeeeMode: 1
; LDSByteSize: 0 bytes/workgroup (compile time only)
; SGPRBlocks: 1
; VGPRBlocks: 1
; NumSGPRsForWavesPerEU: 15
; NumVGPRsForWavesPerEU: 15
; AccumOffset: 16
; Occupancy: 8
; WaveLimiterHint : 0
; COMPUTE_PGM_RSRC2:SCRATCH_EN: 0
; COMPUTE_PGM_RSRC2:USER_SGPR: 2
; COMPUTE_PGM_RSRC2:TRAP_HANDLER: 0
; COMPUTE_PGM_RSRC2:TGID_X_EN: 1
; COMPUTE_PGM_RSRC2:TGID_Y_EN: 0
; COMPUTE_PGM_RSRC2:TGID_Z_EN: 0
; COMPUTE_PGM_RSRC2:TIDIG_COMP_CNT: 0
; COMPUTE_PGM_RSRC3_GFX90A:ACCUM_OFFSET: 3
; COMPUTE_PGM_RSRC3_GFX90A:TG_SPLIT: 0
	.section	.text._ZL21dequantize_block_q6_KI6__halfEvPKvPT_,"axG",@progbits,_ZL21dequantize_block_q6_KI6__halfEvPKvPT_,comdat
	.globl	_ZL21dequantize_block_q6_KI6__halfEvPKvPT_ ; -- Begin function _ZL21dequantize_block_q6_KI6__halfEvPKvPT_
	.p2align	8
	.type	_ZL21dequantize_block_q6_KI6__halfEvPKvPT_,@function
_ZL21dequantize_block_q6_KI6__halfEvPKvPT_: ; @_ZL21dequantize_block_q6_KI6__halfEvPKvPT_
; %bb.0:
	s_load_dwordx4 s[4:7], s[0:1], 0x0
	s_mov_b32 s3, 0
	s_lshl_b64 s[0:1], s[2:3], 9
	s_mul_hi_u32 s3, s2, 0xd2
	s_mulk_i32 s2, 0xd2
	s_waitcnt lgkmcnt(0)
	s_add_u32 s0, s6, s0
	s_addc_u32 s1, s7, s1
	v_lshrrev_b32_e32 v4, 5, v0
	v_mov_b32_e32 v1, 0
	v_bfe_u32 v2, v0, 4, 1
	s_add_u32 s2, s4, s2
	v_lshl_or_b32 v5, v4, 3, v2
	s_addc_u32 s3, s5, s3
	v_lshlrev_b32_e32 v2, 6, v4
	v_mov_b32_e32 v3, v1
	global_load_ushort v6, v1, s[2:3] offset:208
	global_load_sbyte v7, v5, s[2:3] offset:192
	global_load_ubyte v8, v0, s[2:3] offset:128
	global_load_sbyte v9, v5, s[2:3] offset:194
	global_load_sbyte v10, v5, s[2:3] offset:196
	v_and_b32_e32 v0, 31, v0
	v_lshl_add_u64 v[2:3], s[2:3], 0, v[2:3]
	v_lshl_add_u64 v[2:3], v[2:3], 0, v[0:1]
	global_load_ubyte v11, v[2:3], off
	global_load_ubyte v12, v[2:3], off offset:32
	global_load_sbyte v13, v5, s[2:3] offset:198
	v_mov_b32_e32 v3, v1
	v_lshlrev_b32_e32 v2, 8, v4
	v_lshlrev_b32_e32 v0, 1, v0
	v_lshl_add_u64 v[2:3], s[0:1], 0, v[2:3]
	v_lshl_add_u64 v[0:1], v[2:3], 0, v[0:1]
	v_mov_b32_e32 v5, 32
	s_waitcnt vmcnt(7)
	v_cvt_f32_f16_e32 v2, v6
	s_waitcnt vmcnt(6)
	v_cvt_f32_i32_e32 v3, v7
	s_waitcnt vmcnt(5)
	v_lshlrev_b16_e32 v4, 4, v8
	s_waitcnt vmcnt(4)
	v_cvt_f32_i32_e32 v6, v9
	v_lshlrev_b16_e32 v7, 2, v8
	s_waitcnt vmcnt(3)
	v_cvt_f32_i32_e32 v9, v10
	v_and_b32_e32 v10, 48, v8
	v_lshrrev_b16_e32 v8, 2, v8
	v_and_b32_e32 v4, 48, v4
	s_waitcnt vmcnt(2)
	v_and_b32_e32 v14, 15, v11
	v_and_b32_e32 v7, 48, v7
	;; [unrolled: 1-line block ×3, first 2 shown]
	s_waitcnt vmcnt(1)
	v_and_b32_e32 v15, 15, v12
	v_lshrrev_b16_e32 v11, 4, v11
	v_lshrrev_b16_e32 v12, 4, v12
	v_or_b32_e32 v4, v14, v4
	v_or_b32_e32 v7, v15, v7
	;; [unrolled: 1-line block ×4, first 2 shown]
	v_sub_u32_sdwa v4, v4, v5 dst_sel:DWORD dst_unused:UNUSED_PAD src0_sel:WORD_0 src1_sel:DWORD
	s_waitcnt vmcnt(0)
	v_cvt_f32_i32_e32 v13, v13
	v_sub_u32_sdwa v7, v7, v5 dst_sel:DWORD dst_unused:UNUSED_PAD src0_sel:WORD_0 src1_sel:DWORD
	v_sub_u32_sdwa v10, v10, v5 dst_sel:DWORD dst_unused:UNUSED_PAD src0_sel:WORD_0 src1_sel:DWORD
	;; [unrolled: 1-line block ×3, first 2 shown]
	v_cvt_f32_i32_e32 v4, v4
	v_cvt_f32_i32_e32 v7, v7
	;; [unrolled: 1-line block ×4, first 2 shown]
	v_mul_f32_e32 v3, v2, v3
	v_mul_f32_e32 v6, v2, v6
	;; [unrolled: 1-line block ×4, first 2 shown]
	v_fma_mixlo_f16 v3, v3, v4, 0
	v_fma_mixlo_f16 v4, v6, v7, 0
	;; [unrolled: 1-line block ×4, first 2 shown]
	global_store_short v[0:1], v3, off
	global_store_short v[0:1], v4, off offset:64
	global_store_short v[0:1], v6, off offset:128
	;; [unrolled: 1-line block ×3, first 2 shown]
	s_endpgm
	.section	.rodata,"a",@progbits
	.p2align	6, 0x0
	.amdhsa_kernel _ZL21dequantize_block_q6_KI6__halfEvPKvPT_
		.amdhsa_group_segment_fixed_size 0
		.amdhsa_private_segment_fixed_size 0
		.amdhsa_kernarg_size 16
		.amdhsa_user_sgpr_count 2
		.amdhsa_user_sgpr_dispatch_ptr 0
		.amdhsa_user_sgpr_queue_ptr 0
		.amdhsa_user_sgpr_kernarg_segment_ptr 1
		.amdhsa_user_sgpr_dispatch_id 0
		.amdhsa_user_sgpr_kernarg_preload_length 0
		.amdhsa_user_sgpr_kernarg_preload_offset 0
		.amdhsa_user_sgpr_private_segment_size 0
		.amdhsa_uses_dynamic_stack 0
		.amdhsa_enable_private_segment 0
		.amdhsa_system_sgpr_workgroup_id_x 1
		.amdhsa_system_sgpr_workgroup_id_y 0
		.amdhsa_system_sgpr_workgroup_id_z 0
		.amdhsa_system_sgpr_workgroup_info 0
		.amdhsa_system_vgpr_workitem_id 0
		.amdhsa_next_free_vgpr 16
		.amdhsa_next_free_sgpr 8
		.amdhsa_accum_offset 16
		.amdhsa_reserve_vcc 0
		.amdhsa_float_round_mode_32 0
		.amdhsa_float_round_mode_16_64 0
		.amdhsa_float_denorm_mode_32 3
		.amdhsa_float_denorm_mode_16_64 3
		.amdhsa_dx10_clamp 1
		.amdhsa_ieee_mode 1
		.amdhsa_fp16_overflow 0
		.amdhsa_tg_split 0
		.amdhsa_exception_fp_ieee_invalid_op 0
		.amdhsa_exception_fp_denorm_src 0
		.amdhsa_exception_fp_ieee_div_zero 0
		.amdhsa_exception_fp_ieee_overflow 0
		.amdhsa_exception_fp_ieee_underflow 0
		.amdhsa_exception_fp_ieee_inexact 0
		.amdhsa_exception_int_div_zero 0
	.end_amdhsa_kernel
	.section	.text._ZL21dequantize_block_q6_KI6__halfEvPKvPT_,"axG",@progbits,_ZL21dequantize_block_q6_KI6__halfEvPKvPT_,comdat
.Lfunc_end8:
	.size	_ZL21dequantize_block_q6_KI6__halfEvPKvPT_, .Lfunc_end8-_ZL21dequantize_block_q6_KI6__halfEvPKvPT_
                                        ; -- End function
	.section	.AMDGPU.csdata,"",@progbits
; Kernel info:
; codeLenInByte = 440
; NumSgprs: 14
; NumVgprs: 16
; NumAgprs: 0
; TotalNumVgprs: 16
; ScratchSize: 0
; MemoryBound: 0
; FloatMode: 240
; IeeeMode: 1
; LDSByteSize: 0 bytes/workgroup (compile time only)
; SGPRBlocks: 1
; VGPRBlocks: 1
; NumSGPRsForWavesPerEU: 14
; NumVGPRsForWavesPerEU: 16
; AccumOffset: 16
; Occupancy: 8
; WaveLimiterHint : 0
; COMPUTE_PGM_RSRC2:SCRATCH_EN: 0
; COMPUTE_PGM_RSRC2:USER_SGPR: 2
; COMPUTE_PGM_RSRC2:TRAP_HANDLER: 0
; COMPUTE_PGM_RSRC2:TGID_X_EN: 1
; COMPUTE_PGM_RSRC2:TGID_Y_EN: 0
; COMPUTE_PGM_RSRC2:TGID_Z_EN: 0
; COMPUTE_PGM_RSRC2:TIDIG_COMP_CNT: 0
; COMPUTE_PGM_RSRC3_GFX90A:ACCUM_OFFSET: 3
; COMPUTE_PGM_RSRC3_GFX90A:TG_SPLIT: 0
	.section	.text._ZL24dequantize_block_iq2_xxsI6__halfEvPKvPT_,"axG",@progbits,_ZL24dequantize_block_iq2_xxsI6__halfEvPKvPT_,comdat
	.globl	_ZL24dequantize_block_iq2_xxsI6__halfEvPKvPT_ ; -- Begin function _ZL24dequantize_block_iq2_xxsI6__halfEvPKvPT_
	.p2align	8
	.type	_ZL24dequantize_block_iq2_xxsI6__halfEvPKvPT_,@function
_ZL24dequantize_block_iq2_xxsI6__halfEvPKvPT_: ; @_ZL24dequantize_block_iq2_xxsI6__halfEvPKvPT_
; %bb.0:
	s_load_dwordx4 s[4:7], s[0:1], 0x0
	s_mov_b32 s3, 0
	s_lshl_b64 s[0:1], s[2:3], 9
	s_mul_hi_u32 s3, s2, 0x42
	s_mulk_i32 s2, 0x42
	s_waitcnt lgkmcnt(0)
	s_add_u32 s0, s6, s0
	s_addc_u32 s1, s7, s1
	v_and_b32_e32 v6, 7, v0
	s_add_u32 s2, s4, s2
	v_mov_b32_e32 v5, 0
	s_addc_u32 s3, s5, s3
	v_lshlrev_b32_e32 v2, 3, v6
	v_mov_b32_e32 v3, v5
	global_load_dword v7, v2, s[2:3] offset:6
	v_lshrrev_b32_e32 v4, 3, v0
	v_lshl_add_u64 v[2:3], s[2:3], 0, v[2:3]
	v_lshl_add_u64 v[2:3], v[2:3], 0, v[4:5]
	global_load_ubyte v1, v[2:3], off offset:2
	global_load_ushort v8, v5, s[2:3]
	v_mul_u32_u24_e32 v2, 7, v4
	s_getpc_b64 s[2:3]
	s_add_u32 s2, s2, _ZL12ksigns_iq2xs@rel32@lo+4
	s_addc_u32 s3, s3, _ZL12ksigns_iq2xs@rel32@hi+12
	v_and_b32_e32 v4, 0x3f8, v0
	v_lshlrev_b32_e32 v0, 6, v6
	v_lshlrev_b32_e32 v4, 1, v4
	s_waitcnt vmcnt(2)
	v_bfe_u32 v9, v7, v2, 7
	global_load_sbyte v10, v9, s[2:3]
	s_getpc_b64 s[2:3]
	s_add_u32 s2, s2, _ZL11iq2xxs_grid@rel32@lo+4
	s_addc_u32 s3, s3, _ZL11iq2xxs_grid@rel32@hi+12
	s_waitcnt vmcnt(2)
	v_lshlrev_b32_e32 v1, 3, v1
	global_load_dwordx2 v[2:3], v1, s[2:3]
	v_mov_b32_e32 v1, v5
	v_lshl_add_u64 v[0:1], s[0:1], 0, v[0:1]
	v_lshl_add_u64 v[4:5], v[0:1], 0, v[4:5]
	s_waitcnt vmcnt(2)
	v_cvt_f32_f16_e32 v0, v8
	v_lshrrev_b32_e32 v1, 28, v7
	v_cvt_f32_ubyte0_e32 v1, v1
	v_add_f32_e32 v1, 0.5, v1
	v_mul_f32_e32 v0, v1, v0
	v_mul_f32_e32 v0, 0x3e800000, v0
	s_waitcnt vmcnt(1)
	v_and_b32_e32 v1, 1, v10
	v_and_b32_e32 v6, 2, v10
	v_cmp_eq_u16_e32 vcc, 0, v1
	s_waitcnt vmcnt(0)
	v_cvt_f32_ubyte0_e32 v13, v2
	v_cvt_f32_ubyte1_e32 v14, v2
	v_mul_f32_e32 v13, v0, v13
	v_and_b32_e32 v7, 4, v10
	v_cvt_f32_ubyte2_e32 v15, v2
	v_cvt_f32_ubyte3_e32 v2, v2
	v_cvt_f32_ubyte0_e32 v16, v3
	v_cvt_f32_ubyte1_e32 v17, v3
	v_cvt_f32_ubyte2_e32 v18, v3
	v_cvt_f32_ubyte3_e32 v3, v3
	v_mul_f32_e32 v14, v0, v14
	v_cndmask_b32_e64 v1, -v13, v13, vcc
	v_cmp_eq_u16_e32 vcc, 0, v6
	v_and_b32_e32 v8, 8, v10
	v_mul_f32_e32 v15, v0, v15
	v_mul_f32_e32 v2, v0, v2
	;; [unrolled: 1-line block ×6, first 2 shown]
	v_cndmask_b32_e64 v3, -v14, v14, vcc
	v_cmp_eq_u16_e32 vcc, 0, v7
	v_and_b32_e32 v11, 16, v10
	v_and_b32_e32 v12, 32, v10
	v_cndmask_b32_e64 v6, -v15, v15, vcc
	v_cmp_eq_u16_e32 vcc, 0, v8
	s_nop 1
	v_cndmask_b32_e64 v2, -v2, v2, vcc
	v_cmp_eq_u16_e32 vcc, 0, v11
	v_cvt_f16_f32_e32 v11, v3
	s_nop 0
	v_cndmask_b32_e64 v7, -v16, v16, vcc
	v_cmp_eq_u16_e32 vcc, 0, v12
	s_nop 1
	v_cndmask_b32_e64 v8, -v17, v17, vcc
	v_cmp_gt_u32_e32 vcc, 64, v9
	v_cvt_f16_f32_e32 v8, v8
	s_nop 0
	v_cndmask_b32_e64 v9, -v18, v18, vcc
	v_cmp_gt_i16_e32 vcc, 0, v10
	v_cvt_f16_f32_e32 v10, v1
	v_cvt_f16_f32_e32 v1, v6
	v_cndmask_b32_e64 v0, v0, -v0, vcc
	v_cvt_f16_f32_e32 v6, v7
	v_cvt_f16_f32_e32 v7, v9
	;; [unrolled: 1-line block ×4, first 2 shown]
	v_pack_b32_f16 v2, v6, v8
	v_pack_b32_f16 v3, v7, v0
	;; [unrolled: 1-line block ×4, first 2 shown]
	global_store_dwordx4 v[4:5], v[0:3], off
	s_endpgm
	.section	.rodata,"a",@progbits
	.p2align	6, 0x0
	.amdhsa_kernel _ZL24dequantize_block_iq2_xxsI6__halfEvPKvPT_
		.amdhsa_group_segment_fixed_size 0
		.amdhsa_private_segment_fixed_size 0
		.amdhsa_kernarg_size 16
		.amdhsa_user_sgpr_count 2
		.amdhsa_user_sgpr_dispatch_ptr 0
		.amdhsa_user_sgpr_queue_ptr 0
		.amdhsa_user_sgpr_kernarg_segment_ptr 1
		.amdhsa_user_sgpr_dispatch_id 0
		.amdhsa_user_sgpr_kernarg_preload_length 0
		.amdhsa_user_sgpr_kernarg_preload_offset 0
		.amdhsa_user_sgpr_private_segment_size 0
		.amdhsa_uses_dynamic_stack 0
		.amdhsa_enable_private_segment 0
		.amdhsa_system_sgpr_workgroup_id_x 1
		.amdhsa_system_sgpr_workgroup_id_y 0
		.amdhsa_system_sgpr_workgroup_id_z 0
		.amdhsa_system_sgpr_workgroup_info 0
		.amdhsa_system_vgpr_workitem_id 0
		.amdhsa_next_free_vgpr 19
		.amdhsa_next_free_sgpr 8
		.amdhsa_accum_offset 20
		.amdhsa_reserve_vcc 1
		.amdhsa_float_round_mode_32 0
		.amdhsa_float_round_mode_16_64 0
		.amdhsa_float_denorm_mode_32 3
		.amdhsa_float_denorm_mode_16_64 3
		.amdhsa_dx10_clamp 1
		.amdhsa_ieee_mode 1
		.amdhsa_fp16_overflow 0
		.amdhsa_tg_split 0
		.amdhsa_exception_fp_ieee_invalid_op 0
		.amdhsa_exception_fp_denorm_src 0
		.amdhsa_exception_fp_ieee_div_zero 0
		.amdhsa_exception_fp_ieee_overflow 0
		.amdhsa_exception_fp_ieee_underflow 0
		.amdhsa_exception_fp_ieee_inexact 0
		.amdhsa_exception_int_div_zero 0
	.end_amdhsa_kernel
	.section	.text._ZL24dequantize_block_iq2_xxsI6__halfEvPKvPT_,"axG",@progbits,_ZL24dequantize_block_iq2_xxsI6__halfEvPKvPT_,comdat
.Lfunc_end9:
	.size	_ZL24dequantize_block_iq2_xxsI6__halfEvPKvPT_, .Lfunc_end9-_ZL24dequantize_block_iq2_xxsI6__halfEvPKvPT_
                                        ; -- End function
	.section	.AMDGPU.csdata,"",@progbits
; Kernel info:
; codeLenInByte = 540
; NumSgprs: 14
; NumVgprs: 19
; NumAgprs: 0
; TotalNumVgprs: 19
; ScratchSize: 0
; MemoryBound: 0
; FloatMode: 240
; IeeeMode: 1
; LDSByteSize: 0 bytes/workgroup (compile time only)
; SGPRBlocks: 1
; VGPRBlocks: 2
; NumSGPRsForWavesPerEU: 14
; NumVGPRsForWavesPerEU: 19
; AccumOffset: 20
; Occupancy: 8
; WaveLimiterHint : 0
; COMPUTE_PGM_RSRC2:SCRATCH_EN: 0
; COMPUTE_PGM_RSRC2:USER_SGPR: 2
; COMPUTE_PGM_RSRC2:TRAP_HANDLER: 0
; COMPUTE_PGM_RSRC2:TGID_X_EN: 1
; COMPUTE_PGM_RSRC2:TGID_Y_EN: 0
; COMPUTE_PGM_RSRC2:TGID_Z_EN: 0
; COMPUTE_PGM_RSRC2:TIDIG_COMP_CNT: 0
; COMPUTE_PGM_RSRC3_GFX90A:ACCUM_OFFSET: 4
; COMPUTE_PGM_RSRC3_GFX90A:TG_SPLIT: 0
	.section	.text._ZL23dequantize_block_iq2_xsI6__halfEvPKvPT_,"axG",@progbits,_ZL23dequantize_block_iq2_xsI6__halfEvPKvPT_,comdat
	.globl	_ZL23dequantize_block_iq2_xsI6__halfEvPKvPT_ ; -- Begin function _ZL23dequantize_block_iq2_xsI6__halfEvPKvPT_
	.p2align	8
	.type	_ZL23dequantize_block_iq2_xsI6__halfEvPKvPT_,@function
_ZL23dequantize_block_iq2_xsI6__halfEvPKvPT_: ; @_ZL23dequantize_block_iq2_xsI6__halfEvPKvPT_
; %bb.0:
	s_load_dwordx4 s[4:7], s[0:1], 0x0
	s_mov_b32 s3, 0
	s_lshl_b64 s[0:1], s[2:3], 9
	v_and_b32_e32 v8, 7, v0
	v_lshlrev_b32_e32 v4, 6, v8
	s_waitcnt lgkmcnt(0)
	s_add_u32 s0, s6, s0
	s_addc_u32 s1, s7, s1
	v_mov_b32_e32 v5, 0
	v_lshl_add_u64 v[2:3], s[0:1], 0, v[4:5]
	v_and_b32_e32 v1, 0x3f8, v0
	s_mul_i32 s0, s2, 0x4a
	v_lshlrev_b32_e32 v4, 1, v1
	s_mul_hi_u32 s1, s2, 0x4a
	s_add_u32 s0, s4, s0
	v_lshl_add_u64 v[2:3], v[2:3], 0, v[4:5]
	s_addc_u32 s1, s5, s1
	v_lshlrev_b32_e32 v4, 3, v8
	v_lshrrev_b32_e32 v9, 2, v0
	v_lshl_add_u64 v[6:7], s[0:1], 0, v[4:5]
	v_and_b32_e32 v4, 0xfe, v9
	v_lshl_add_u64 v[0:1], v[6:7], 0, v[4:5]
	global_load_ushort v6, v[0:1], off offset:2
	global_load_ushort v7, v5, s[0:1]
	global_load_ubyte v10, v8, s[0:1] offset:66
	v_mov_b32_e32 v0, 3
	s_getpc_b64 s[2:3]
	s_add_u32 s2, s2, _ZL10iq2xs_grid@rel32@lo+4
	s_addc_u32 s3, s3, _ZL10iq2xs_grid@rel32@hi+12
	s_getpc_b64 s[4:5]
	s_add_u32 s4, s4, _ZL12ksigns_iq2xs@rel32@lo+4
	s_addc_u32 s5, s5, _ZL12ksigns_iq2xs@rel32@hi+12
	s_waitcnt vmcnt(2)
	v_and_b32_e32 v1, 0x1ff, v6
	v_lshrrev_b16_e32 v4, 9, v6
	v_lshlrev_b32_sdwa v8, v0, v1 dst_sel:DWORD dst_unused:UNUSED_PAD src0_sel:DWORD src1_sel:WORD_0
	v_lshl_add_u64 v[0:1], v[4:5], 0, s[4:5]
	global_load_dwordx2 v[4:5], v8, s[2:3]
	global_load_sbyte v11, v[0:1], off
	v_and_b32_e32 v0, 0xfc, v9
	s_waitcnt vmcnt(3)
	v_cvt_f32_f16_e32 v1, v7
	s_waitcnt vmcnt(2)
	v_bfe_u32 v0, v10, v0, 4
	v_cvt_f32_ubyte0_e32 v0, v0
	v_add_f32_e32 v0, 0.5, v0
	v_mul_f32_e32 v0, v0, v1
	v_mul_f32_e32 v0, 0x3e800000, v0
	s_waitcnt vmcnt(1)
	v_cvt_f32_ubyte0_e32 v1, v4
	s_waitcnt vmcnt(0)
	v_and_b32_e32 v7, 1, v11
	v_cvt_f32_ubyte1_e32 v8, v4
	v_and_b32_e32 v9, 2, v11
	v_mul_f32_e32 v1, v0, v1
	v_cmp_eq_u16_e32 vcc, 0, v7
	v_cvt_f32_ubyte2_e32 v10, v4
	v_and_b32_e32 v12, 4, v11
	v_cvt_f32_ubyte3_e32 v4, v4
	v_cvt_f32_ubyte0_e32 v14, v5
	v_cvt_f32_ubyte1_e32 v16, v5
	v_cvt_f32_ubyte2_e32 v18, v5
	v_cvt_f32_ubyte3_e32 v5, v5
	v_mul_f32_e32 v8, v0, v8
	v_cndmask_b32_e64 v1, -v1, v1, vcc
	v_cmp_eq_u16_e32 vcc, 0, v9
	v_and_b32_e32 v13, 8, v11
	v_mul_f32_e32 v10, v0, v10
	v_mul_f32_e32 v4, v0, v4
	;; [unrolled: 1-line block ×6, first 2 shown]
	v_cndmask_b32_e64 v5, -v8, v8, vcc
	v_cmp_eq_u16_e32 vcc, 0, v12
	v_and_b32_e32 v15, 16, v11
	v_and_b32_e32 v17, 32, v11
	v_cndmask_b32_e64 v7, -v10, v10, vcc
	v_cmp_eq_u16_e32 vcc, 0, v13
	v_cvt_f16_f32_e32 v1, v1
	v_cvt_f16_f32_e32 v10, v7
	v_cndmask_b32_e64 v4, -v4, v4, vcc
	v_cmp_eq_u16_e32 vcc, 0, v15
	v_cvt_f16_f32_e32 v4, v4
	s_nop 0
	v_cndmask_b32_e64 v8, -v14, v14, vcc
	v_cmp_eq_u16_e32 vcc, 0, v17
	v_cvt_f16_f32_e32 v8, v8
	s_nop 0
	v_cndmask_b32_e64 v9, -v16, v16, vcc
	v_cmp_gt_i16_e32 vcc, 0, v6
	v_cvt_f16_f32_e32 v9, v9
	s_nop 0
	v_cndmask_b32_e64 v6, v18, -v18, vcc
	v_cmp_gt_i16_e32 vcc, 0, v11
	v_cvt_f16_f32_e32 v6, v6
	v_cvt_f16_f32_e32 v11, v5
	v_cndmask_b32_e64 v0, v0, -v0, vcc
	v_cvt_f16_f32_e32 v0, v0
	v_pack_b32_f16 v5, v10, v4
	v_pack_b32_f16 v4, v1, v11
	;; [unrolled: 1-line block ×4, first 2 shown]
	global_store_dwordx4 v[2:3], v[4:7], off
	s_endpgm
	.section	.rodata,"a",@progbits
	.p2align	6, 0x0
	.amdhsa_kernel _ZL23dequantize_block_iq2_xsI6__halfEvPKvPT_
		.amdhsa_group_segment_fixed_size 0
		.amdhsa_private_segment_fixed_size 0
		.amdhsa_kernarg_size 16
		.amdhsa_user_sgpr_count 2
		.amdhsa_user_sgpr_dispatch_ptr 0
		.amdhsa_user_sgpr_queue_ptr 0
		.amdhsa_user_sgpr_kernarg_segment_ptr 1
		.amdhsa_user_sgpr_dispatch_id 0
		.amdhsa_user_sgpr_kernarg_preload_length 0
		.amdhsa_user_sgpr_kernarg_preload_offset 0
		.amdhsa_user_sgpr_private_segment_size 0
		.amdhsa_uses_dynamic_stack 0
		.amdhsa_enable_private_segment 0
		.amdhsa_system_sgpr_workgroup_id_x 1
		.amdhsa_system_sgpr_workgroup_id_y 0
		.amdhsa_system_sgpr_workgroup_id_z 0
		.amdhsa_system_sgpr_workgroup_info 0
		.amdhsa_system_vgpr_workitem_id 0
		.amdhsa_next_free_vgpr 19
		.amdhsa_next_free_sgpr 8
		.amdhsa_accum_offset 20
		.amdhsa_reserve_vcc 1
		.amdhsa_float_round_mode_32 0
		.amdhsa_float_round_mode_16_64 0
		.amdhsa_float_denorm_mode_32 3
		.amdhsa_float_denorm_mode_16_64 3
		.amdhsa_dx10_clamp 1
		.amdhsa_ieee_mode 1
		.amdhsa_fp16_overflow 0
		.amdhsa_tg_split 0
		.amdhsa_exception_fp_ieee_invalid_op 0
		.amdhsa_exception_fp_denorm_src 0
		.amdhsa_exception_fp_ieee_div_zero 0
		.amdhsa_exception_fp_ieee_overflow 0
		.amdhsa_exception_fp_ieee_underflow 0
		.amdhsa_exception_fp_ieee_inexact 0
		.amdhsa_exception_int_div_zero 0
	.end_amdhsa_kernel
	.section	.text._ZL23dequantize_block_iq2_xsI6__halfEvPKvPT_,"axG",@progbits,_ZL23dequantize_block_iq2_xsI6__halfEvPKvPT_,comdat
.Lfunc_end10:
	.size	_ZL23dequantize_block_iq2_xsI6__halfEvPKvPT_, .Lfunc_end10-_ZL23dequantize_block_iq2_xsI6__halfEvPKvPT_
                                        ; -- End function
	.section	.AMDGPU.csdata,"",@progbits
; Kernel info:
; codeLenInByte = 568
; NumSgprs: 14
; NumVgprs: 19
; NumAgprs: 0
; TotalNumVgprs: 19
; ScratchSize: 0
; MemoryBound: 0
; FloatMode: 240
; IeeeMode: 1
; LDSByteSize: 0 bytes/workgroup (compile time only)
; SGPRBlocks: 1
; VGPRBlocks: 2
; NumSGPRsForWavesPerEU: 14
; NumVGPRsForWavesPerEU: 19
; AccumOffset: 20
; Occupancy: 8
; WaveLimiterHint : 0
; COMPUTE_PGM_RSRC2:SCRATCH_EN: 0
; COMPUTE_PGM_RSRC2:USER_SGPR: 2
; COMPUTE_PGM_RSRC2:TRAP_HANDLER: 0
; COMPUTE_PGM_RSRC2:TGID_X_EN: 1
; COMPUTE_PGM_RSRC2:TGID_Y_EN: 0
; COMPUTE_PGM_RSRC2:TGID_Z_EN: 0
; COMPUTE_PGM_RSRC2:TIDIG_COMP_CNT: 0
; COMPUTE_PGM_RSRC3_GFX90A:ACCUM_OFFSET: 4
; COMPUTE_PGM_RSRC3_GFX90A:TG_SPLIT: 0
	.section	.text._ZL22dequantize_block_iq2_sI6__halfEvPKvPT_,"axG",@progbits,_ZL22dequantize_block_iq2_sI6__halfEvPKvPT_,comdat
	.globl	_ZL22dequantize_block_iq2_sI6__halfEvPKvPT_ ; -- Begin function _ZL22dequantize_block_iq2_sI6__halfEvPKvPT_
	.p2align	8
	.type	_ZL22dequantize_block_iq2_sI6__halfEvPKvPT_,@function
_ZL22dequantize_block_iq2_sI6__halfEvPKvPT_: ; @_ZL22dequantize_block_iq2_sI6__halfEvPKvPT_
; %bb.0:
	s_load_dwordx4 s[4:7], s[0:1], 0x0
	s_mov_b32 s3, 0
	s_lshl_b64 s[0:1], s[2:3], 9
	v_mov_b32_e32 v3, 0
	v_and_b32_e32 v8, 7, v0
	s_waitcnt lgkmcnt(0)
	s_add_u32 s0, s6, s0
	s_addc_u32 s1, s7, s1
	s_mul_hi_u32 s3, s2, 0x52
	s_mulk_i32 s2, 0x52
	v_lshrrev_b32_e32 v2, 3, v0
	s_add_u32 s2, s4, s2
	v_lshlrev_b32_e32 v4, 2, v8
	v_mov_b32_e32 v5, v3
	s_addc_u32 s3, s5, s3
	v_lshl_add_u64 v[4:5], v[4:5], 0, v[2:3]
	v_lshl_add_u64 v[6:7], s[2:3], 0, v[4:5]
	global_load_ubyte v1, v8, s[2:3] offset:66
	global_load_ubyte v9, v[6:7], off offset:2
	s_add_u32 s4, s2, 2
	s_addc_u32 s5, s3, 0
	v_lshlrev_b32_e32 v2, 1, v2
	v_lshl_add_u64 v[4:5], s[4:5], 0, v[4:5]
	global_load_ushort v10, v3, s[2:3]
	global_load_sbyte v11, v[4:5], off offset:32
	global_load_ubyte v12, v8, s[2:3] offset:74
	v_sub_u32_e32 v2, 8, v2
	s_movk_i32 s4, 0x300
	s_getpc_b64 s[2:3]
	s_add_u32 s2, s2, _ZL9iq2s_grid@rel32@lo+4
	s_addc_u32 s3, s3, _ZL9iq2s_grid@rel32@hi+12
	v_lshrrev_b32_e32 v6, 2, v0
	s_waitcnt vmcnt(4)
	v_lshlrev_b32_e32 v1, v2, v1
	s_waitcnt vmcnt(3)
	v_and_or_b32 v1, v1, s4, v9
	v_lshlrev_b32_e32 v1, 3, v1
	global_load_dwordx2 v[4:5], v1, s[2:3]
	v_mov_b32_e32 v1, v3
	v_and_b32_e32 v2, 0x3f8, v0
	v_lshlrev_b32_e32 v0, 6, v8
	v_lshlrev_b32_e32 v2, 1, v2
	v_lshl_add_u64 v[0:1], s[0:1], 0, v[0:1]
	v_and_b32_e32 v8, 0xfc, v6
	v_lshl_add_u64 v[6:7], v[0:1], 0, v[2:3]
	s_waitcnt vmcnt(3)
	v_cvt_f32_f16_e32 v0, v10
	s_waitcnt vmcnt(1)
	v_bfe_u32 v1, v12, v8, 4
	v_cvt_f32_ubyte0_e32 v1, v1
	v_add_f32_e32 v1, 0.5, v1
	v_mul_f32_e32 v0, v1, v0
	v_and_b32_e32 v2, 1, v11
	v_mul_f32_e32 v0, 0x3e800000, v0
	v_and_b32_e32 v3, 2, v11
	v_cmp_eq_u16_e32 vcc, 0, v2
	v_and_b32_e32 v8, 4, v11
	v_and_b32_e32 v9, 8, v11
	;; [unrolled: 1-line block ×5, first 2 shown]
	s_waitcnt vmcnt(0)
	v_cvt_f32_ubyte0_e32 v1, v4
	v_cvt_f32_ubyte1_e32 v14, v4
	v_mul_f32_e32 v1, v0, v1
	v_cvt_f32_ubyte2_e32 v15, v4
	v_mul_f32_e32 v14, v0, v14
	v_cndmask_b32_e64 v1, -v1, v1, vcc
	v_cmp_eq_u16_e32 vcc, 0, v3
	v_cvt_f32_ubyte3_e32 v4, v4
	v_mul_f32_e32 v15, v0, v15
	v_cndmask_b32_e64 v2, -v14, v14, vcc
	v_cmp_eq_u16_e32 vcc, 0, v8
	v_cvt_f32_ubyte0_e32 v16, v5
	v_mul_f32_e32 v4, v0, v4
	v_cndmask_b32_e64 v3, -v15, v15, vcc
	v_cmp_eq_u16_e32 vcc, 0, v9
	v_cvt_f32_ubyte1_e32 v17, v5
	v_cvt_f32_ubyte2_e32 v18, v5
	v_cvt_f32_ubyte3_e32 v5, v5
	v_mul_f32_e32 v16, v0, v16
	v_cndmask_b32_e64 v4, -v4, v4, vcc
	v_cmp_eq_u16_e32 vcc, 0, v10
	v_mul_f32_e32 v17, v0, v17
	v_mul_f32_e32 v18, v0, v18
	;; [unrolled: 1-line block ×3, first 2 shown]
	v_cndmask_b32_e64 v5, -v16, v16, vcc
	v_cmp_eq_u16_e32 vcc, 0, v12
	v_cvt_f16_f32_e32 v10, v1
	v_cvt_f16_f32_e32 v1, v3
	v_cndmask_b32_e64 v8, -v17, v17, vcc
	v_cmp_eq_u16_e32 vcc, 0, v13
	v_cvt_f16_f32_e32 v5, v5
	v_cvt_f16_f32_e32 v8, v8
	v_cndmask_b32_e64 v9, -v18, v18, vcc
	v_cmp_gt_i16_e32 vcc, 0, v11
	v_cvt_f16_f32_e32 v3, v9
	v_cvt_f16_f32_e32 v4, v4
	v_cndmask_b32_e64 v0, v0, -v0, vcc
	v_cvt_f16_f32_e32 v0, v0
	v_cvt_f16_f32_e32 v9, v2
	v_pack_b32_f16 v2, v5, v8
	v_pack_b32_f16 v1, v1, v4
	;; [unrolled: 1-line block ×4, first 2 shown]
	global_store_dwordx4 v[6:7], v[0:3], off
	s_endpgm
	.section	.rodata,"a",@progbits
	.p2align	6, 0x0
	.amdhsa_kernel _ZL22dequantize_block_iq2_sI6__halfEvPKvPT_
		.amdhsa_group_segment_fixed_size 0
		.amdhsa_private_segment_fixed_size 0
		.amdhsa_kernarg_size 16
		.amdhsa_user_sgpr_count 2
		.amdhsa_user_sgpr_dispatch_ptr 0
		.amdhsa_user_sgpr_queue_ptr 0
		.amdhsa_user_sgpr_kernarg_segment_ptr 1
		.amdhsa_user_sgpr_dispatch_id 0
		.amdhsa_user_sgpr_kernarg_preload_length 0
		.amdhsa_user_sgpr_kernarg_preload_offset 0
		.amdhsa_user_sgpr_private_segment_size 0
		.amdhsa_uses_dynamic_stack 0
		.amdhsa_enable_private_segment 0
		.amdhsa_system_sgpr_workgroup_id_x 1
		.amdhsa_system_sgpr_workgroup_id_y 0
		.amdhsa_system_sgpr_workgroup_id_z 0
		.amdhsa_system_sgpr_workgroup_info 0
		.amdhsa_system_vgpr_workitem_id 0
		.amdhsa_next_free_vgpr 19
		.amdhsa_next_free_sgpr 8
		.amdhsa_accum_offset 20
		.amdhsa_reserve_vcc 1
		.amdhsa_float_round_mode_32 0
		.amdhsa_float_round_mode_16_64 0
		.amdhsa_float_denorm_mode_32 3
		.amdhsa_float_denorm_mode_16_64 3
		.amdhsa_dx10_clamp 1
		.amdhsa_ieee_mode 1
		.amdhsa_fp16_overflow 0
		.amdhsa_tg_split 0
		.amdhsa_exception_fp_ieee_invalid_op 0
		.amdhsa_exception_fp_denorm_src 0
		.amdhsa_exception_fp_ieee_div_zero 0
		.amdhsa_exception_fp_ieee_overflow 0
		.amdhsa_exception_fp_ieee_underflow 0
		.amdhsa_exception_fp_ieee_inexact 0
		.amdhsa_exception_int_div_zero 0
	.end_amdhsa_kernel
	.section	.text._ZL22dequantize_block_iq2_sI6__halfEvPKvPT_,"axG",@progbits,_ZL22dequantize_block_iq2_sI6__halfEvPKvPT_,comdat
.Lfunc_end11:
	.size	_ZL22dequantize_block_iq2_sI6__halfEvPKvPT_, .Lfunc_end11-_ZL22dequantize_block_iq2_sI6__halfEvPKvPT_
                                        ; -- End function
	.section	.AMDGPU.csdata,"",@progbits
; Kernel info:
; codeLenInByte = 560
; NumSgprs: 14
; NumVgprs: 19
; NumAgprs: 0
; TotalNumVgprs: 19
; ScratchSize: 0
; MemoryBound: 0
; FloatMode: 240
; IeeeMode: 1
; LDSByteSize: 0 bytes/workgroup (compile time only)
; SGPRBlocks: 1
; VGPRBlocks: 2
; NumSGPRsForWavesPerEU: 14
; NumVGPRsForWavesPerEU: 19
; AccumOffset: 20
; Occupancy: 8
; WaveLimiterHint : 0
; COMPUTE_PGM_RSRC2:SCRATCH_EN: 0
; COMPUTE_PGM_RSRC2:USER_SGPR: 2
; COMPUTE_PGM_RSRC2:TRAP_HANDLER: 0
; COMPUTE_PGM_RSRC2:TGID_X_EN: 1
; COMPUTE_PGM_RSRC2:TGID_Y_EN: 0
; COMPUTE_PGM_RSRC2:TGID_Z_EN: 0
; COMPUTE_PGM_RSRC2:TIDIG_COMP_CNT: 0
; COMPUTE_PGM_RSRC3_GFX90A:ACCUM_OFFSET: 4
; COMPUTE_PGM_RSRC3_GFX90A:TG_SPLIT: 0
	.section	.text._ZL24dequantize_block_iq3_xxsI6__halfEvPKvPT_,"axG",@progbits,_ZL24dequantize_block_iq3_xxsI6__halfEvPKvPT_,comdat
	.globl	_ZL24dequantize_block_iq3_xxsI6__halfEvPKvPT_ ; -- Begin function _ZL24dequantize_block_iq3_xxsI6__halfEvPKvPT_
	.p2align	8
	.type	_ZL24dequantize_block_iq3_xxsI6__halfEvPKvPT_,@function
_ZL24dequantize_block_iq3_xxsI6__halfEvPKvPT_: ; @_ZL24dequantize_block_iq3_xxsI6__halfEvPKvPT_
; %bb.0:
	s_load_dwordx4 s[4:7], s[0:1], 0x0
	s_mov_b32 s3, 0
	s_lshl_b64 s[0:1], s[2:3], 9
	v_and_b32_e32 v6, 7, v0
	v_lshlrev_b32_e32 v2, 6, v6
	s_waitcnt lgkmcnt(0)
	s_add_u32 s0, s6, s0
	s_addc_u32 s1, s7, s1
	v_mov_b32_e32 v3, 0
	v_lshrrev_b32_e32 v8, 3, v0
	v_lshl_add_u64 v[4:5], s[0:1], 0, v[2:3]
	v_and_b32_e32 v0, 0x3f8, v0
	s_mul_i32 s0, s2, 0x62
	v_lshlrev_b32_e32 v2, 1, v0
	s_mul_hi_u32 s1, s2, 0x62
	s_add_u32 s0, s4, s0
	v_lshl_add_u64 v[0:1], v[4:5], 0, v[2:3]
	s_addc_u32 s1, s5, s1
	v_lshlrev_b32_e32 v2, 3, v6
	v_lshl_add_u64 v[4:5], s[0:1], 0, v[2:3]
	v_lshlrev_b32_e32 v2, 2, v6
	v_sub_co_u32_e32 v6, vcc, v4, v2
	v_lshlrev_b32_e32 v2, 1, v8
	s_nop 0
	v_subbrev_co_u32_e32 v7, vcc, 0, v5, vcc
	v_lshl_add_u64 v[4:5], v[4:5], 0, v[2:3]
	global_load_ushort v2, v[4:5], off offset:2
	global_load_ushort v9, v3, s[0:1]
	global_load_dword v10, v[6:7], off offset:66
	v_mov_b32_e32 v3, 2
	s_getpc_b64 s[0:1]
	s_add_u32 s0, s0, _ZL11iq3xxs_grid@rel32@lo+4
	s_addc_u32 s1, s1, _ZL11iq3xxs_grid@rel32@hi+12
	v_mul_u32_u24_e32 v4, 7, v8
	s_getpc_b64 s[2:3]
	s_add_u32 s2, s2, _ZL12ksigns_iq2xs@rel32@lo+4
	s_addc_u32 s3, s3, _ZL12ksigns_iq2xs@rel32@hi+12
	s_waitcnt vmcnt(2)
	v_lshlrev_b32_sdwa v5, v3, v2 dst_sel:DWORD dst_unused:UNUSED_PAD src0_sel:DWORD src1_sel:BYTE_0
	v_lshlrev_b32_sdwa v2, v3, v2 dst_sel:DWORD dst_unused:UNUSED_PAD src0_sel:DWORD src1_sel:BYTE_1
	s_waitcnt vmcnt(0)
	v_bfe_u32 v3, v10, v4, 7
	global_load_dword v4, v5, s[0:1]
	global_load_sbyte v6, v3, s[2:3]
	global_load_dword v7, v2, s[0:1]
	v_cvt_f32_f16_e32 v2, v9
	v_lshrrev_b32_e32 v5, 28, v10
	v_cvt_f32_ubyte0_e32 v5, v5
	v_add_f32_e32 v5, 0.5, v5
	v_mul_f32_e32 v2, v5, v2
	v_mul_f32_e32 v2, 0.5, v2
	s_waitcnt vmcnt(2)
	v_cvt_f32_ubyte0_e32 v5, v4
	s_waitcnt vmcnt(1)
	v_and_b32_e32 v8, 1, v6
	s_waitcnt vmcnt(0)
	v_cvt_f32_ubyte0_e32 v9, v7
	v_and_b32_e32 v10, 16, v6
	v_mul_f32_e32 v5, v2, v5
	v_cmp_eq_u16_e32 vcc, 0, v8
	v_cvt_f32_ubyte1_e32 v11, v4
	v_and_b32_e32 v12, 2, v6
	v_cvt_f32_ubyte1_e32 v13, v7
	v_cvt_f32_ubyte2_e32 v15, v4
	v_cvt_f32_ubyte2_e32 v17, v7
	v_cvt_f32_ubyte3_e32 v4, v4
	v_cvt_f32_ubyte3_e32 v7, v7
	v_mul_f32_e32 v9, v2, v9
	v_cndmask_b32_e64 v5, -v5, v5, vcc
	v_cmp_eq_u16_e32 vcc, 0, v10
	v_and_b32_e32 v14, 32, v6
	v_mul_f32_e32 v11, v2, v11
	v_mul_f32_e32 v13, v2, v13
	;; [unrolled: 1-line block ×6, first 2 shown]
	v_cndmask_b32_e64 v7, -v9, v9, vcc
	v_cmp_eq_u16_e32 vcc, 0, v12
	v_and_b32_e32 v16, 4, v6
	v_and_b32_e32 v18, 8, v6
	v_cndmask_b32_e64 v8, -v11, v11, vcc
	v_cmp_eq_u16_e32 vcc, 0, v14
	v_cvt_f16_f32_e32 v7, v7
	v_cvt_f16_f32_e32 v8, v8
	v_cndmask_b32_e64 v9, -v13, v13, vcc
	v_cmp_eq_u16_e32 vcc, 0, v16
	v_cvt_f16_f32_e32 v9, v9
	s_nop 0
	v_cndmask_b32_e64 v10, -v15, v15, vcc
	v_cmp_gt_u32_e32 vcc, 64, v3
	v_cvt_f16_f32_e32 v10, v10
	s_nop 0
	v_cndmask_b32_e64 v3, -v17, v17, vcc
	v_cmp_eq_u16_e32 vcc, 0, v18
	v_cvt_f16_f32_e32 v3, v3
	s_nop 0
	v_cndmask_b32_e64 v4, -v4, v4, vcc
	v_cmp_gt_i16_e32 vcc, 0, v6
	v_cvt_f16_f32_e32 v6, v5
	v_cvt_f16_f32_e32 v11, v4
	v_cndmask_b32_e64 v2, v2, -v2, vcc
	v_cvt_f16_f32_e32 v2, v2
	v_pack_b32_f16 v4, v7, v9
	v_pack_b32_f16 v5, v3, v2
	;; [unrolled: 1-line block ×4, first 2 shown]
	global_store_dwordx4 v[0:1], v[2:5], off
	s_endpgm
	.section	.rodata,"a",@progbits
	.p2align	6, 0x0
	.amdhsa_kernel _ZL24dequantize_block_iq3_xxsI6__halfEvPKvPT_
		.amdhsa_group_segment_fixed_size 0
		.amdhsa_private_segment_fixed_size 0
		.amdhsa_kernarg_size 16
		.amdhsa_user_sgpr_count 2
		.amdhsa_user_sgpr_dispatch_ptr 0
		.amdhsa_user_sgpr_queue_ptr 0
		.amdhsa_user_sgpr_kernarg_segment_ptr 1
		.amdhsa_user_sgpr_dispatch_id 0
		.amdhsa_user_sgpr_kernarg_preload_length 0
		.amdhsa_user_sgpr_kernarg_preload_offset 0
		.amdhsa_user_sgpr_private_segment_size 0
		.amdhsa_uses_dynamic_stack 0
		.amdhsa_enable_private_segment 0
		.amdhsa_system_sgpr_workgroup_id_x 1
		.amdhsa_system_sgpr_workgroup_id_y 0
		.amdhsa_system_sgpr_workgroup_id_z 0
		.amdhsa_system_sgpr_workgroup_info 0
		.amdhsa_system_vgpr_workitem_id 0
		.amdhsa_next_free_vgpr 19
		.amdhsa_next_free_sgpr 8
		.amdhsa_accum_offset 20
		.amdhsa_reserve_vcc 1
		.amdhsa_float_round_mode_32 0
		.amdhsa_float_round_mode_16_64 0
		.amdhsa_float_denorm_mode_32 3
		.amdhsa_float_denorm_mode_16_64 3
		.amdhsa_dx10_clamp 1
		.amdhsa_ieee_mode 1
		.amdhsa_fp16_overflow 0
		.amdhsa_tg_split 0
		.amdhsa_exception_fp_ieee_invalid_op 0
		.amdhsa_exception_fp_denorm_src 0
		.amdhsa_exception_fp_ieee_div_zero 0
		.amdhsa_exception_fp_ieee_overflow 0
		.amdhsa_exception_fp_ieee_underflow 0
		.amdhsa_exception_fp_ieee_inexact 0
		.amdhsa_exception_int_div_zero 0
	.end_amdhsa_kernel
	.section	.text._ZL24dequantize_block_iq3_xxsI6__halfEvPKvPT_,"axG",@progbits,_ZL24dequantize_block_iq3_xxsI6__halfEvPKvPT_,comdat
.Lfunc_end12:
	.size	_ZL24dequantize_block_iq3_xxsI6__halfEvPKvPT_, .Lfunc_end12-_ZL24dequantize_block_iq3_xxsI6__halfEvPKvPT_
                                        ; -- End function
	.section	.AMDGPU.csdata,"",@progbits
; Kernel info:
; codeLenInByte = 572
; NumSgprs: 14
; NumVgprs: 19
; NumAgprs: 0
; TotalNumVgprs: 19
; ScratchSize: 0
; MemoryBound: 0
; FloatMode: 240
; IeeeMode: 1
; LDSByteSize: 0 bytes/workgroup (compile time only)
; SGPRBlocks: 1
; VGPRBlocks: 2
; NumSGPRsForWavesPerEU: 14
; NumVGPRsForWavesPerEU: 19
; AccumOffset: 20
; Occupancy: 8
; WaveLimiterHint : 0
; COMPUTE_PGM_RSRC2:SCRATCH_EN: 0
; COMPUTE_PGM_RSRC2:USER_SGPR: 2
; COMPUTE_PGM_RSRC2:TRAP_HANDLER: 0
; COMPUTE_PGM_RSRC2:TGID_X_EN: 1
; COMPUTE_PGM_RSRC2:TGID_Y_EN: 0
; COMPUTE_PGM_RSRC2:TGID_Z_EN: 0
; COMPUTE_PGM_RSRC2:TIDIG_COMP_CNT: 0
; COMPUTE_PGM_RSRC3_GFX90A:ACCUM_OFFSET: 4
; COMPUTE_PGM_RSRC3_GFX90A:TG_SPLIT: 0
	.section	.text._ZL22dequantize_block_iq1_sI6__halfEvPKvPT_,"axG",@progbits,_ZL22dequantize_block_iq1_sI6__halfEvPKvPT_,comdat
	.globl	_ZL22dequantize_block_iq1_sI6__halfEvPKvPT_ ; -- Begin function _ZL22dequantize_block_iq1_sI6__halfEvPKvPT_
	.p2align	8
	.type	_ZL22dequantize_block_iq1_sI6__halfEvPKvPT_,@function
_ZL22dequantize_block_iq1_sI6__halfEvPKvPT_: ; @_ZL22dequantize_block_iq1_sI6__halfEvPKvPT_
; %bb.0:
	s_load_dwordx4 s[4:7], s[0:1], 0x0
	s_mov_b32 s3, 0
	s_lshl_b64 s[0:1], s[2:3], 9
	s_mul_hi_u32 s3, s2, 50
	s_mul_i32 s2, s2, 50
	s_waitcnt lgkmcnt(0)
	s_add_u32 s0, s6, s0
	s_addc_u32 s1, s7, s1
	v_and_b32_e32 v6, 7, v0
	s_add_u32 s2, s4, s2
	v_mov_b32_e32 v3, 0
	s_addc_u32 s3, s5, s3
	v_lshlrev_b32_e32 v1, 1, v6
	v_lshrrev_b32_e32 v2, 3, v0
	global_load_ushort v7, v1, s[2:3] offset:34
	v_lshlrev_b32_e32 v4, 2, v6
	v_mov_b32_e32 v5, v3
	v_lshl_add_u64 v[4:5], v[4:5], 0, v[2:3]
	v_lshl_add_u64 v[4:5], s[2:3], 0, v[4:5]
	global_load_ubyte v1, v[4:5], off offset:2
	global_load_ushort v8, v3, s[2:3]
	v_mul_u32_u24_e32 v2, 3, v2
	s_movk_i32 s4, 0x700
	s_getpc_b64 s[2:3]
	s_add_u32 s2, s2, _ZL13iq1s_grid_gpu@rel32@lo+4
	s_addc_u32 s3, s3, _ZL13iq1s_grid_gpu@rel32@hi+12
	v_mov_b32_e32 v10, 0xbf900000
	v_mov_b32_e32 v11, 0xbf600000
	s_waitcnt vmcnt(2)
	v_lshrrev_b32_sdwa v2, v2, v7 dst_sel:DWORD dst_unused:UNUSED_PAD src0_sel:DWORD src1_sel:WORD_0
	v_lshlrev_b32_e32 v2, 8, v2
	v_cmp_lt_i16_e32 vcc, -1, v7
	s_waitcnt vmcnt(1)
	v_and_or_b32 v1, v2, s4, v1
	v_lshlrev_b32_e32 v1, 2, v1
	global_load_dword v9, v1, s[2:3]
	v_mov_b32_e32 v1, v3
	v_and_b32_e32 v2, 0x3f8, v0
	v_lshlrev_b32_e32 v0, 6, v6
	v_lshlrev_b32_e32 v2, 1, v2
	v_lshl_add_u64 v[0:1], s[0:1], 0, v[0:1]
	v_lshl_add_u64 v[4:5], v[0:1], 0, v[2:3]
	s_waitcnt vmcnt(1)
	v_cvt_f32_f16_e32 v1, v8
	v_lshrrev_b16_e32 v2, 11, v7
	v_and_b32_e32 v2, 14, v2
	v_or_b32_e32 v2, 1, v2
	v_cvt_f32_ubyte0_e32 v2, v2
	v_cndmask_b32_e32 v0, v10, v11, vcc
	v_mul_f32_e32 v2, v1, v2
	s_waitcnt vmcnt(0)
	v_and_b32_e32 v1, 0xf0f0f0f, v9
	v_bfe_u32 v3, v9, 16, 4
	v_bfe_u32 v8, v9, 8, 4
	v_and_b32_e32 v10, 15, v9
	v_lshrrev_b32_e32 v11, 28, v9
	v_bfe_u32 v12, v9, 20, 4
	v_bfe_u32 v13, v9, 12, 4
	;; [unrolled: 1-line block ×3, first 2 shown]
	v_cvt_f32_ubyte3_e32 v7, v1
	v_cvt_f32_ubyte0_e32 v6, v3
	v_cvt_f32_ubyte0_e32 v9, v8
	;; [unrolled: 1-line block ×7, first 2 shown]
	v_pk_add_f32 v[8:9], v[0:1], v[8:9] op_sel_hi:[0,1]
	v_pk_add_f32 v[6:7], v[0:1], v[6:7] op_sel_hi:[0,1]
	;; [unrolled: 1-line block ×4, first 2 shown]
	v_pk_mul_f32 v[6:7], v[2:3], v[6:7] op_sel_hi:[0,1]
	v_pk_mul_f32 v[8:9], v[2:3], v[8:9] op_sel_hi:[0,1]
	;; [unrolled: 1-line block ×4, first 2 shown]
	v_cvt_f16_f32_e32 v9, v9
	v_cvt_f16_f32_e32 v7, v7
	;; [unrolled: 1-line block ×8, first 2 shown]
	v_pack_b32_f16 v3, v0, v1
	v_pack_b32_f16 v2, v2, v10
	;; [unrolled: 1-line block ×4, first 2 shown]
	global_store_dwordx4 v[4:5], v[0:3], off
	s_endpgm
	.section	.rodata,"a",@progbits
	.p2align	6, 0x0
	.amdhsa_kernel _ZL22dequantize_block_iq1_sI6__halfEvPKvPT_
		.amdhsa_group_segment_fixed_size 0
		.amdhsa_private_segment_fixed_size 0
		.amdhsa_kernarg_size 16
		.amdhsa_user_sgpr_count 2
		.amdhsa_user_sgpr_dispatch_ptr 0
		.amdhsa_user_sgpr_queue_ptr 0
		.amdhsa_user_sgpr_kernarg_segment_ptr 1
		.amdhsa_user_sgpr_dispatch_id 0
		.amdhsa_user_sgpr_kernarg_preload_length 0
		.amdhsa_user_sgpr_kernarg_preload_offset 0
		.amdhsa_user_sgpr_private_segment_size 0
		.amdhsa_uses_dynamic_stack 0
		.amdhsa_enable_private_segment 0
		.amdhsa_system_sgpr_workgroup_id_x 1
		.amdhsa_system_sgpr_workgroup_id_y 0
		.amdhsa_system_sgpr_workgroup_id_z 0
		.amdhsa_system_sgpr_workgroup_info 0
		.amdhsa_system_vgpr_workitem_id 0
		.amdhsa_next_free_vgpr 15
		.amdhsa_next_free_sgpr 8
		.amdhsa_accum_offset 16
		.amdhsa_reserve_vcc 1
		.amdhsa_float_round_mode_32 0
		.amdhsa_float_round_mode_16_64 0
		.amdhsa_float_denorm_mode_32 3
		.amdhsa_float_denorm_mode_16_64 3
		.amdhsa_dx10_clamp 1
		.amdhsa_ieee_mode 1
		.amdhsa_fp16_overflow 0
		.amdhsa_tg_split 0
		.amdhsa_exception_fp_ieee_invalid_op 0
		.amdhsa_exception_fp_denorm_src 0
		.amdhsa_exception_fp_ieee_div_zero 0
		.amdhsa_exception_fp_ieee_overflow 0
		.amdhsa_exception_fp_ieee_underflow 0
		.amdhsa_exception_fp_ieee_inexact 0
		.amdhsa_exception_int_div_zero 0
	.end_amdhsa_kernel
	.section	.text._ZL22dequantize_block_iq1_sI6__halfEvPKvPT_,"axG",@progbits,_ZL22dequantize_block_iq1_sI6__halfEvPKvPT_,comdat
.Lfunc_end13:
	.size	_ZL22dequantize_block_iq1_sI6__halfEvPKvPT_, .Lfunc_end13-_ZL22dequantize_block_iq1_sI6__halfEvPKvPT_
                                        ; -- End function
	.section	.AMDGPU.csdata,"",@progbits
; Kernel info:
; codeLenInByte = 496
; NumSgprs: 14
; NumVgprs: 15
; NumAgprs: 0
; TotalNumVgprs: 15
; ScratchSize: 0
; MemoryBound: 0
; FloatMode: 240
; IeeeMode: 1
; LDSByteSize: 0 bytes/workgroup (compile time only)
; SGPRBlocks: 1
; VGPRBlocks: 1
; NumSGPRsForWavesPerEU: 14
; NumVGPRsForWavesPerEU: 15
; AccumOffset: 16
; Occupancy: 8
; WaveLimiterHint : 0
; COMPUTE_PGM_RSRC2:SCRATCH_EN: 0
; COMPUTE_PGM_RSRC2:USER_SGPR: 2
; COMPUTE_PGM_RSRC2:TRAP_HANDLER: 0
; COMPUTE_PGM_RSRC2:TGID_X_EN: 1
; COMPUTE_PGM_RSRC2:TGID_Y_EN: 0
; COMPUTE_PGM_RSRC2:TGID_Z_EN: 0
; COMPUTE_PGM_RSRC2:TIDIG_COMP_CNT: 0
; COMPUTE_PGM_RSRC3_GFX90A:ACCUM_OFFSET: 3
; COMPUTE_PGM_RSRC3_GFX90A:TG_SPLIT: 0
	.section	.text._ZL22dequantize_block_iq1_mI6__halfEvPKvPT_,"axG",@progbits,_ZL22dequantize_block_iq1_mI6__halfEvPKvPT_,comdat
	.globl	_ZL22dequantize_block_iq1_mI6__halfEvPKvPT_ ; -- Begin function _ZL22dequantize_block_iq1_mI6__halfEvPKvPT_
	.p2align	8
	.type	_ZL22dequantize_block_iq1_mI6__halfEvPKvPT_,@function
_ZL22dequantize_block_iq1_mI6__halfEvPKvPT_: ; @_ZL22dequantize_block_iq1_mI6__halfEvPKvPT_
; %bb.0:
	s_load_dwordx4 s[4:7], s[0:1], 0x0
	s_mov_b32 s3, 0
	s_lshl_b64 s[0:1], s[2:3], 9
	v_mov_b32_e32 v3, 0
	v_and_b32_e32 v10, 7, v0
	s_waitcnt lgkmcnt(0)
	s_add_u32 s0, s6, s0
	s_addc_u32 s1, s7, s1
	s_mul_hi_u32 s3, s2, 56
	s_mul_i32 s2, s2, 56
	s_add_u32 s2, s4, s2
	v_lshlrev_b32_e32 v4, 1, v10
	v_mov_b32_e32 v5, v3
	v_lshrrev_b32_e32 v6, 4, v0
	v_mov_b32_e32 v7, v3
	s_addc_u32 s3, s5, s3
	v_lshl_add_u64 v[4:5], v[4:5], 0, v[6:7]
	v_lshl_add_u64 v[6:7], s[2:3], 0, v[4:5]
	v_lshrrev_b32_e32 v2, 3, v0
	global_load_ubyte v1, v[6:7], off offset:32
	v_lshlrev_b32_e32 v6, 2, v10
	v_mov_b32_e32 v7, v3
	v_lshl_add_u64 v[6:7], v[6:7], 0, v[2:3]
	v_lshl_add_u64 v[6:7], s[2:3], 0, v[6:7]
	global_load_ubyte v2, v[6:7], off
	global_load_dwordx2 v[8:9], v3, s[2:3] offset:48
	v_lshrrev_b32_e32 v5, 1, v4
	v_and_b32_e32 v5, 62, v5
	global_load_ushort v6, v5, s[2:3] offset:48
	v_lshrrev_b32_e32 v5, 1, v0
	v_and_b32_e32 v5, 4, v5
	s_movk_i32 s4, 0x700
	s_getpc_b64 s[2:3]
	s_add_u32 s2, s2, _ZL13iq1s_grid_gpu@rel32@lo+4
	s_addc_u32 s3, s3, _ZL13iq1s_grid_gpu@rel32@hi+12
	v_mov_b32_e32 v12, 0xffff
	v_and_b32_e32 v4, 3, v4
	v_mov_b32_e32 v13, 0xbf900000
	v_mov_b32_e32 v14, 0xbf600000
	s_waitcnt vmcnt(3)
	v_lshrrev_b32_e32 v7, v5, v1
	v_lshlrev_b32_e32 v1, 8, v7
	s_waitcnt vmcnt(2)
	v_and_or_b32 v1, v1, s4, v2
	v_lshlrev_b32_e32 v1, 2, v1
	global_load_dword v11, v1, s[2:3]
	v_mov_b32_e32 v1, v3
	v_and_b32_e32 v2, 0x3f8, v0
	v_lshlrev_b32_e32 v0, 6, v10
	v_lshlrev_b32_e32 v2, 1, v2
	v_lshl_add_u64 v[0:1], s[0:1], 0, v[0:1]
	v_mul_u32_u24_e32 v10, 3, v4
	v_lshl_add_u64 v[4:5], v[0:1], 0, v[2:3]
	s_waitcnt vmcnt(2)
	v_and_b32_sdwa v0, v12, v8 dst_sel:DWORD dst_unused:UNUSED_PAD src0_sel:DWORD src1_sel:WORD_1
	s_mov_b32 s2, 0x40008
	v_lshl_or_b32 v0, v9, 16, v0
	v_pk_lshrrev_b16 v0, s2, v0
	v_bfe_u32 v1, v8, 12, 4
	v_and_b32_e32 v0, 0xf0000f0, v0
	s_mov_b32 s3, 0xf000
	v_or_b32_e32 v1, v0, v1
	v_and_b32_sdwa v2, v9, s3 dst_sel:DWORD dst_unused:UNUSED_PAD src0_sel:WORD_1 src1_sel:DWORD
	v_or_b32_sdwa v0, v1, v0 dst_sel:DWORD dst_unused:UNUSED_PAD src0_sel:DWORD src1_sel:WORD_1
	v_or_b32_e32 v0, v0, v2
	s_waitcnt vmcnt(1)
	v_lshrrev_b32_e32 v3, v10, v6
	v_cvt_f32_f16_e32 v1, v0
	v_lshlrev_b32_e32 v3, 1, v3
	v_and_or_b32 v3, v3, 14, 1
	v_and_b32_e32 v6, 8, v7
	v_cvt_f32_ubyte0_e32 v2, v3
	v_cmp_eq_u32_e32 vcc, 0, v6
	v_mul_f32_e32 v2, v1, v2
	s_waitcnt vmcnt(0)
	v_and_b32_e32 v1, 0xf0f0f0f, v11
	v_cndmask_b32_e32 v0, v13, v14, vcc
	v_bfe_u32 v3, v11, 16, 4
	v_bfe_u32 v8, v11, 8, 4
	v_and_b32_e32 v10, 15, v11
	v_lshrrev_b32_e32 v12, 28, v11
	v_bfe_u32 v13, v11, 20, 4
	v_bfe_u32 v14, v11, 12, 4
	;; [unrolled: 1-line block ×3, first 2 shown]
	v_cvt_f32_ubyte3_e32 v7, v1
	v_cvt_f32_ubyte0_e32 v6, v3
	v_cvt_f32_ubyte0_e32 v9, v8
	;; [unrolled: 1-line block ×7, first 2 shown]
	v_pk_add_f32 v[8:9], v[0:1], v[8:9] op_sel_hi:[0,1]
	v_pk_add_f32 v[6:7], v[0:1], v[6:7] op_sel_hi:[0,1]
	;; [unrolled: 1-line block ×4, first 2 shown]
	v_pk_mul_f32 v[6:7], v[2:3], v[6:7] op_sel_hi:[0,1]
	v_pk_mul_f32 v[8:9], v[2:3], v[8:9] op_sel_hi:[0,1]
	;; [unrolled: 1-line block ×4, first 2 shown]
	v_cvt_f16_f32_e32 v9, v9
	v_cvt_f16_f32_e32 v7, v7
	;; [unrolled: 1-line block ×8, first 2 shown]
	v_pack_b32_f16 v3, v0, v1
	v_pack_b32_f16 v2, v2, v10
	;; [unrolled: 1-line block ×4, first 2 shown]
	global_store_dwordx4 v[4:5], v[0:3], off
	s_endpgm
	.section	.rodata,"a",@progbits
	.p2align	6, 0x0
	.amdhsa_kernel _ZL22dequantize_block_iq1_mI6__halfEvPKvPT_
		.amdhsa_group_segment_fixed_size 0
		.amdhsa_private_segment_fixed_size 0
		.amdhsa_kernarg_size 16
		.amdhsa_user_sgpr_count 2
		.amdhsa_user_sgpr_dispatch_ptr 0
		.amdhsa_user_sgpr_queue_ptr 0
		.amdhsa_user_sgpr_kernarg_segment_ptr 1
		.amdhsa_user_sgpr_dispatch_id 0
		.amdhsa_user_sgpr_kernarg_preload_length 0
		.amdhsa_user_sgpr_kernarg_preload_offset 0
		.amdhsa_user_sgpr_private_segment_size 0
		.amdhsa_uses_dynamic_stack 0
		.amdhsa_enable_private_segment 0
		.amdhsa_system_sgpr_workgroup_id_x 1
		.amdhsa_system_sgpr_workgroup_id_y 0
		.amdhsa_system_sgpr_workgroup_id_z 0
		.amdhsa_system_sgpr_workgroup_info 0
		.amdhsa_system_vgpr_workitem_id 0
		.amdhsa_next_free_vgpr 16
		.amdhsa_next_free_sgpr 8
		.amdhsa_accum_offset 16
		.amdhsa_reserve_vcc 1
		.amdhsa_float_round_mode_32 0
		.amdhsa_float_round_mode_16_64 0
		.amdhsa_float_denorm_mode_32 3
		.amdhsa_float_denorm_mode_16_64 3
		.amdhsa_dx10_clamp 1
		.amdhsa_ieee_mode 1
		.amdhsa_fp16_overflow 0
		.amdhsa_tg_split 0
		.amdhsa_exception_fp_ieee_invalid_op 0
		.amdhsa_exception_fp_denorm_src 0
		.amdhsa_exception_fp_ieee_div_zero 0
		.amdhsa_exception_fp_ieee_overflow 0
		.amdhsa_exception_fp_ieee_underflow 0
		.amdhsa_exception_fp_ieee_inexact 0
		.amdhsa_exception_int_div_zero 0
	.end_amdhsa_kernel
	.section	.text._ZL22dequantize_block_iq1_mI6__halfEvPKvPT_,"axG",@progbits,_ZL22dequantize_block_iq1_mI6__halfEvPKvPT_,comdat
.Lfunc_end14:
	.size	_ZL22dequantize_block_iq1_mI6__halfEvPKvPT_, .Lfunc_end14-_ZL22dequantize_block_iq1_mI6__halfEvPKvPT_
                                        ; -- End function
	.section	.AMDGPU.csdata,"",@progbits
; Kernel info:
; codeLenInByte = 648
; NumSgprs: 14
; NumVgprs: 16
; NumAgprs: 0
; TotalNumVgprs: 16
; ScratchSize: 0
; MemoryBound: 0
; FloatMode: 240
; IeeeMode: 1
; LDSByteSize: 0 bytes/workgroup (compile time only)
; SGPRBlocks: 1
; VGPRBlocks: 1
; NumSGPRsForWavesPerEU: 14
; NumVGPRsForWavesPerEU: 16
; AccumOffset: 16
; Occupancy: 8
; WaveLimiterHint : 0
; COMPUTE_PGM_RSRC2:SCRATCH_EN: 0
; COMPUTE_PGM_RSRC2:USER_SGPR: 2
; COMPUTE_PGM_RSRC2:TRAP_HANDLER: 0
; COMPUTE_PGM_RSRC2:TGID_X_EN: 1
; COMPUTE_PGM_RSRC2:TGID_Y_EN: 0
; COMPUTE_PGM_RSRC2:TGID_Z_EN: 0
; COMPUTE_PGM_RSRC2:TIDIG_COMP_CNT: 0
; COMPUTE_PGM_RSRC3_GFX90A:ACCUM_OFFSET: 3
; COMPUTE_PGM_RSRC3_GFX90A:TG_SPLIT: 0
	.section	.text._ZL23dequantize_block_iq4_nlI6__halfEvPKvPT_,"axG",@progbits,_ZL23dequantize_block_iq4_nlI6__halfEvPKvPT_,comdat
	.globl	_ZL23dequantize_block_iq4_nlI6__halfEvPKvPT_ ; -- Begin function _ZL23dequantize_block_iq4_nlI6__halfEvPKvPT_
	.p2align	8
	.type	_ZL23dequantize_block_iq4_nlI6__halfEvPKvPT_,@function
_ZL23dequantize_block_iq4_nlI6__halfEvPKvPT_: ; @_ZL23dequantize_block_iq4_nlI6__halfEvPKvPT_
; %bb.0:
	s_load_dwordx4 s[4:7], s[0:1], 0x0
	s_mul_i32 s0, s2, 0x90
	s_mov_b32 s3, 0
	s_mul_hi_u32 s1, s2, 0x90
	v_and_b32_e32 v1, 7, v0
	s_waitcnt lgkmcnt(0)
	s_add_u32 s0, s4, s0
	s_addc_u32 s1, s5, s1
	s_lshl_b64 s[4:5], s[2:3], 9
	s_add_u32 s4, s6, s4
	s_addc_u32 s5, s7, s5
	v_lshlrev_b32_e32 v2, 6, v1
	v_mov_b32_e32 v3, 0
	v_lshrrev_b32_e32 v0, 1, v0
	v_lshl_add_u64 v[4:5], s[4:5], 0, v[2:3]
	v_and_b32_e32 v2, 0x1fc, v0
	v_mad_u64_u32 v[0:1], s[0:1], v1, 18, s[0:1]
	v_lshl_add_u64 v[6:7], v[0:1], 0, v[2:3]
	global_load_dword v9, v[6:7], off offset:2
	global_load_ushort v12, v[0:1], off
	s_getpc_b64 s[0:1]
	s_add_u32 s0, s0, _ZL13kvalues_iq4nl@rel32@lo+4
	s_addc_u32 s1, s1, _ZL13kvalues_iq4nl@rel32@hi+12
	v_mov_b32_e32 v0, 4
	v_lshlrev_b32_e32 v8, 1, v2
	v_mov_b32_e32 v1, s3
	v_mov_b32_e32 v7, s3
	s_waitcnt vmcnt(1)
	v_and_b32_e32 v13, 15, v9
	global_load_sbyte v13, v13, s[0:1]
	v_lshrrev_b32_e32 v6, 8, v9
	v_lshrrev_b16_e32 v10, 4, v9
	v_lshrrev_b16_sdwa v2, v0, v9 dst_sel:DWORD dst_unused:UNUSED_PAD src0_sel:DWORD src1_sel:BYTE_3
	v_and_b32_e32 v0, 15, v10
	v_lshrrev_b16_e32 v6, 4, v6
	v_lshl_add_u64 v[10:11], v[2:3], 0, s[0:1]
	v_and_b32_e32 v0, 0xffff, v0
	v_and_b32_e32 v2, 15, v6
	v_lshl_add_u64 v[0:1], v[0:1], 0, s[0:1]
	v_and_b32_e32 v6, 0xffff, v2
	v_bfe_u32 v14, v9, 8, 4
	global_load_sbyte v2, v[0:1], off
	global_load_sbyte v18, v14, s[0:1]
	v_lshl_add_u64 v[0:1], v[6:7], 0, s[0:1]
	v_bfe_u32 v15, v9, 16, 4
	v_bfe_u32 v16, v9, 20, 4
	;; [unrolled: 1-line block ×3, first 2 shown]
	global_load_sbyte v6, v[0:1], off
	global_load_sbyte v7, v15, s[0:1]
	global_load_sbyte v14, v16, s[0:1]
	;; [unrolled: 1-line block ×3, first 2 shown]
	global_load_sbyte v20, v[10:11], off
	v_mov_b32_e32 v9, v3
	v_lshl_add_u64 v[0:1], v[4:5], 0, v[8:9]
	s_waitcnt vmcnt(7)
	v_cvt_f32_i32_e32 v3, v13
	s_waitcnt vmcnt(6)
	v_cvt_f32_i32_e32 v4, v2
	v_fma_mixlo_f16 v2, v12, v3, 0 op_sel_hi:[1,0,0]
	s_waitcnt vmcnt(5)
	v_cvt_f32_i32_e32 v5, v18
	s_waitcnt vmcnt(3)
	v_cvt_f32_i32_e32 v3, v7
	;; [unrolled: 2-line block ×4, first 2 shown]
	v_cvt_f32_i32_e32 v6, v6
	s_waitcnt vmcnt(0)
	v_cvt_f32_i32_e32 v9, v20
	v_fma_mixlo_f16 v3, v12, v3, 0 op_sel_hi:[1,0,0]
	v_fma_mixlo_f16 v4, v12, v4, 0 op_sel_hi:[1,0,0]
	v_fma_mixhi_f16 v2, v12, v5, 0 op_sel_hi:[1,0,0]
	v_fma_mixlo_f16 v5, v12, v7, 0 op_sel_hi:[1,0,0]
	v_fma_mixhi_f16 v3, v12, v8, 0 op_sel_hi:[1,0,0]
	v_fma_mixhi_f16 v4, v12, v6, 0 op_sel_hi:[1,0,0]
	;; [unrolled: 1-line block ×3, first 2 shown]
	global_store_dwordx2 v[0:1], v[2:3], off
	global_store_dwordx2 v[0:1], v[4:5], off offset:32
	s_endpgm
	.section	.rodata,"a",@progbits
	.p2align	6, 0x0
	.amdhsa_kernel _ZL23dequantize_block_iq4_nlI6__halfEvPKvPT_
		.amdhsa_group_segment_fixed_size 0
		.amdhsa_private_segment_fixed_size 0
		.amdhsa_kernarg_size 16
		.amdhsa_user_sgpr_count 2
		.amdhsa_user_sgpr_dispatch_ptr 0
		.amdhsa_user_sgpr_queue_ptr 0
		.amdhsa_user_sgpr_kernarg_segment_ptr 1
		.amdhsa_user_sgpr_dispatch_id 0
		.amdhsa_user_sgpr_kernarg_preload_length 0
		.amdhsa_user_sgpr_kernarg_preload_offset 0
		.amdhsa_user_sgpr_private_segment_size 0
		.amdhsa_uses_dynamic_stack 0
		.amdhsa_enable_private_segment 0
		.amdhsa_system_sgpr_workgroup_id_x 1
		.amdhsa_system_sgpr_workgroup_id_y 0
		.amdhsa_system_sgpr_workgroup_id_z 0
		.amdhsa_system_sgpr_workgroup_info 0
		.amdhsa_system_vgpr_workitem_id 0
		.amdhsa_next_free_vgpr 21
		.amdhsa_next_free_sgpr 8
		.amdhsa_accum_offset 24
		.amdhsa_reserve_vcc 0
		.amdhsa_float_round_mode_32 0
		.amdhsa_float_round_mode_16_64 0
		.amdhsa_float_denorm_mode_32 3
		.amdhsa_float_denorm_mode_16_64 3
		.amdhsa_dx10_clamp 1
		.amdhsa_ieee_mode 1
		.amdhsa_fp16_overflow 0
		.amdhsa_tg_split 0
		.amdhsa_exception_fp_ieee_invalid_op 0
		.amdhsa_exception_fp_denorm_src 0
		.amdhsa_exception_fp_ieee_div_zero 0
		.amdhsa_exception_fp_ieee_overflow 0
		.amdhsa_exception_fp_ieee_underflow 0
		.amdhsa_exception_fp_ieee_inexact 0
		.amdhsa_exception_int_div_zero 0
	.end_amdhsa_kernel
	.section	.text._ZL23dequantize_block_iq4_nlI6__halfEvPKvPT_,"axG",@progbits,_ZL23dequantize_block_iq4_nlI6__halfEvPKvPT_,comdat
.Lfunc_end15:
	.size	_ZL23dequantize_block_iq4_nlI6__halfEvPKvPT_, .Lfunc_end15-_ZL23dequantize_block_iq4_nlI6__halfEvPKvPT_
                                        ; -- End function
	.section	.AMDGPU.csdata,"",@progbits
; Kernel info:
; codeLenInByte = 480
; NumSgprs: 14
; NumVgprs: 21
; NumAgprs: 0
; TotalNumVgprs: 21
; ScratchSize: 0
; MemoryBound: 0
; FloatMode: 240
; IeeeMode: 1
; LDSByteSize: 0 bytes/workgroup (compile time only)
; SGPRBlocks: 1
; VGPRBlocks: 2
; NumSGPRsForWavesPerEU: 14
; NumVGPRsForWavesPerEU: 21
; AccumOffset: 24
; Occupancy: 8
; WaveLimiterHint : 0
; COMPUTE_PGM_RSRC2:SCRATCH_EN: 0
; COMPUTE_PGM_RSRC2:USER_SGPR: 2
; COMPUTE_PGM_RSRC2:TRAP_HANDLER: 0
; COMPUTE_PGM_RSRC2:TGID_X_EN: 1
; COMPUTE_PGM_RSRC2:TGID_Y_EN: 0
; COMPUTE_PGM_RSRC2:TGID_Z_EN: 0
; COMPUTE_PGM_RSRC2:TIDIG_COMP_CNT: 0
; COMPUTE_PGM_RSRC3_GFX90A:ACCUM_OFFSET: 5
; COMPUTE_PGM_RSRC3_GFX90A:TG_SPLIT: 0
	.section	.text._ZL23dequantize_block_iq4_xsI6__halfEvPKvPT_,"axG",@progbits,_ZL23dequantize_block_iq4_xsI6__halfEvPKvPT_,comdat
	.globl	_ZL23dequantize_block_iq4_xsI6__halfEvPKvPT_ ; -- Begin function _ZL23dequantize_block_iq4_xsI6__halfEvPKvPT_
	.p2align	8
	.type	_ZL23dequantize_block_iq4_xsI6__halfEvPKvPT_,@function
_ZL23dequantize_block_iq4_xsI6__halfEvPKvPT_: ; @_ZL23dequantize_block_iq4_xsI6__halfEvPKvPT_
; %bb.0:
	s_load_dwordx4 s[4:7], s[0:1], 0x0
	s_mov_b32 s3, 0
	s_lshl_b64 s[0:1], s[2:3], 9
	v_and_b32_e32 v1, 7, v0
	v_lshlrev_b32_e32 v2, 6, v1
	s_waitcnt lgkmcnt(0)
	s_add_u32 s0, s6, s0
	s_addc_u32 s1, s7, s1
	v_mov_b32_e32 v3, 0
	v_lshl_add_u64 v[4:5], s[0:1], 0, v[2:3]
	s_mul_i32 s0, s2, 0x88
	s_mul_hi_u32 s1, s2, 0x88
	s_add_u32 s0, s4, s0
	v_lshrrev_b32_e32 v2, 1, v0
	s_addc_u32 s1, s5, s1
	v_lshlrev_b32_e32 v6, 4, v1
	v_mov_b32_e32 v7, v3
	v_and_b32_e32 v2, 0x1fc, v2
	v_lshl_add_u64 v[6:7], s[0:1], 0, v[6:7]
	v_lshl_add_u64 v[6:7], v[6:7], 0, v[2:3]
	global_load_dword v6, v[6:7], off offset:8
	v_bfe_u32 v7, v0, 1, 2
	global_load_dword v11, v3, s[0:1]
	global_load_ubyte v14, v7, s[0:1] offset:4
	s_getpc_b64 s[0:1]
	s_add_u32 s0, s0, _ZL13kvalues_iq4nl@rel32@lo+4
	s_addc_u32 s1, s1, _ZL13kvalues_iq4nl@rel32@hi+12
	v_mov_b32_e32 v8, 4
	v_lshlrev_b32_e32 v10, 1, v2
	v_mov_b32_e32 v7, s3
	v_mov_b32_e32 v9, s3
	v_lshlrev_b32_e32 v0, 2, v0
	v_lshlrev_b32_e32 v1, 1, v1
	v_and_b32_e32 v0, 4, v0
	s_waitcnt vmcnt(2)
	v_and_b32_e32 v15, 15, v6
	global_load_sbyte v15, v15, s[0:1]
	v_lshrrev_b32_e32 v12, 8, v6
	v_lshrrev_b16_e32 v13, 4, v6
	v_bfe_u32 v16, v6, 8, 4
	v_bfe_u32 v17, v6, 16, 4
	;; [unrolled: 1-line block ×4, first 2 shown]
	v_lshrrev_b16_sdwa v2, v8, v6 dst_sel:DWORD dst_unused:UNUSED_PAD src0_sel:DWORD src1_sel:BYTE_3
	v_and_b32_e32 v6, 15, v13
	v_lshrrev_b16_e32 v8, 4, v12
	v_lshl_add_u64 v[12:13], v[2:3], 0, s[0:1]
	v_and_b32_e32 v6, 0xffff, v6
	v_and_b32_e32 v2, 15, v8
	v_lshl_add_u64 v[6:7], v[6:7], 0, s[0:1]
	v_and_b32_e32 v8, 0xffff, v2
	global_load_sbyte v2, v[6:7], off
	global_load_sbyte v20, v16, s[0:1]
	v_lshl_add_u64 v[6:7], v[8:9], 0, s[0:1]
	global_load_sbyte v8, v[6:7], off
	global_load_sbyte v9, v17, s[0:1]
	global_load_sbyte v16, v18, s[0:1]
	;; [unrolled: 1-line block ×3, first 2 shown]
	global_load_sbyte v22, v[12:13], off
	s_waitcnt vmcnt(9)
	v_lshrrev_b32_sdwa v1, v1, v11 dst_sel:DWORD dst_unused:UNUSED_PAD src0_sel:DWORD src1_sel:WORD_1
	s_waitcnt vmcnt(8)
	v_bfe_u32 v0, v14, v0, 4
	v_lshlrev_b32_e32 v1, 4, v1
	v_and_or_b32 v0, v1, 48, v0
	v_subrev_u32_e32 v0, 32, v0
	v_cvt_f32_f16_e32 v6, v11
	v_cvt_f32_i32_e32 v7, v0
	v_mov_b32_e32 v11, v3
	v_lshl_add_u64 v[0:1], v[4:5], 0, v[10:11]
	v_mul_f32_e32 v6, v6, v7
	s_waitcnt vmcnt(7)
	v_cvt_f32_i32_e32 v3, v15
	s_waitcnt vmcnt(4)
	v_cvt_f32_i32_e32 v7, v8
	v_cvt_f32_i32_e32 v4, v2
	v_fma_mixlo_f16 v2, v6, v3, 0
	s_waitcnt vmcnt(3)
	v_cvt_f32_i32_e32 v3, v9
	v_cvt_f32_i32_e32 v5, v20
	s_waitcnt vmcnt(2)
	v_cvt_f32_i32_e32 v8, v16
	s_waitcnt vmcnt(1)
	;; [unrolled: 2-line block ×3, first 2 shown]
	v_cvt_f32_i32_e32 v10, v22
	v_fma_mixlo_f16 v3, v6, v3, 0
	v_fma_mixlo_f16 v4, v6, v4, 0
	v_fma_mixhi_f16 v2, v6, v5, 0
	v_fma_mixlo_f16 v5, v6, v8, 0
	v_fma_mixhi_f16 v3, v6, v9, 0
	v_fma_mixhi_f16 v4, v6, v7, 0
	;; [unrolled: 1-line block ×3, first 2 shown]
	global_store_dwordx2 v[0:1], v[2:3], off
	global_store_dwordx2 v[0:1], v[4:5], off offset:32
	s_endpgm
	.section	.rodata,"a",@progbits
	.p2align	6, 0x0
	.amdhsa_kernel _ZL23dequantize_block_iq4_xsI6__halfEvPKvPT_
		.amdhsa_group_segment_fixed_size 0
		.amdhsa_private_segment_fixed_size 0
		.amdhsa_kernarg_size 16
		.amdhsa_user_sgpr_count 2
		.amdhsa_user_sgpr_dispatch_ptr 0
		.amdhsa_user_sgpr_queue_ptr 0
		.amdhsa_user_sgpr_kernarg_segment_ptr 1
		.amdhsa_user_sgpr_dispatch_id 0
		.amdhsa_user_sgpr_kernarg_preload_length 0
		.amdhsa_user_sgpr_kernarg_preload_offset 0
		.amdhsa_user_sgpr_private_segment_size 0
		.amdhsa_uses_dynamic_stack 0
		.amdhsa_enable_private_segment 0
		.amdhsa_system_sgpr_workgroup_id_x 1
		.amdhsa_system_sgpr_workgroup_id_y 0
		.amdhsa_system_sgpr_workgroup_id_z 0
		.amdhsa_system_sgpr_workgroup_info 0
		.amdhsa_system_vgpr_workitem_id 0
		.amdhsa_next_free_vgpr 23
		.amdhsa_next_free_sgpr 8
		.amdhsa_accum_offset 24
		.amdhsa_reserve_vcc 0
		.amdhsa_float_round_mode_32 0
		.amdhsa_float_round_mode_16_64 0
		.amdhsa_float_denorm_mode_32 3
		.amdhsa_float_denorm_mode_16_64 3
		.amdhsa_dx10_clamp 1
		.amdhsa_ieee_mode 1
		.amdhsa_fp16_overflow 0
		.amdhsa_tg_split 0
		.amdhsa_exception_fp_ieee_invalid_op 0
		.amdhsa_exception_fp_denorm_src 0
		.amdhsa_exception_fp_ieee_div_zero 0
		.amdhsa_exception_fp_ieee_overflow 0
		.amdhsa_exception_fp_ieee_underflow 0
		.amdhsa_exception_fp_ieee_inexact 0
		.amdhsa_exception_int_div_zero 0
	.end_amdhsa_kernel
	.section	.text._ZL23dequantize_block_iq4_xsI6__halfEvPKvPT_,"axG",@progbits,_ZL23dequantize_block_iq4_xsI6__halfEvPKvPT_,comdat
.Lfunc_end16:
	.size	_ZL23dequantize_block_iq4_xsI6__halfEvPKvPT_, .Lfunc_end16-_ZL23dequantize_block_iq4_xsI6__halfEvPKvPT_
                                        ; -- End function
	.section	.AMDGPU.csdata,"",@progbits
; Kernel info:
; codeLenInByte = 564
; NumSgprs: 14
; NumVgprs: 23
; NumAgprs: 0
; TotalNumVgprs: 23
; ScratchSize: 0
; MemoryBound: 0
; FloatMode: 240
; IeeeMode: 1
; LDSByteSize: 0 bytes/workgroup (compile time only)
; SGPRBlocks: 1
; VGPRBlocks: 2
; NumSGPRsForWavesPerEU: 14
; NumVGPRsForWavesPerEU: 23
; AccumOffset: 24
; Occupancy: 8
; WaveLimiterHint : 0
; COMPUTE_PGM_RSRC2:SCRATCH_EN: 0
; COMPUTE_PGM_RSRC2:USER_SGPR: 2
; COMPUTE_PGM_RSRC2:TRAP_HANDLER: 0
; COMPUTE_PGM_RSRC2:TGID_X_EN: 1
; COMPUTE_PGM_RSRC2:TGID_Y_EN: 0
; COMPUTE_PGM_RSRC2:TGID_Z_EN: 0
; COMPUTE_PGM_RSRC2:TIDIG_COMP_CNT: 0
; COMPUTE_PGM_RSRC3_GFX90A:ACCUM_OFFSET: 5
; COMPUTE_PGM_RSRC3_GFX90A:TG_SPLIT: 0
	.section	.text._ZL22dequantize_block_iq3_sI6__halfEvPKvPT_,"axG",@progbits,_ZL22dequantize_block_iq3_sI6__halfEvPKvPT_,comdat
	.globl	_ZL22dequantize_block_iq3_sI6__halfEvPKvPT_ ; -- Begin function _ZL22dequantize_block_iq3_sI6__halfEvPKvPT_
	.p2align	8
	.type	_ZL22dequantize_block_iq3_sI6__halfEvPKvPT_,@function
_ZL22dequantize_block_iq3_sI6__halfEvPKvPT_: ; @_ZL22dequantize_block_iq3_sI6__halfEvPKvPT_
; %bb.0:
	s_load_dwordx4 s[4:7], s[0:1], 0x0
	s_mov_b32 s3, 0
	s_lshl_b64 s[0:1], s[2:3], 9
	v_mov_b32_e32 v3, 0
	v_and_b32_e32 v10, 7, v0
	s_waitcnt lgkmcnt(0)
	s_add_u32 s0, s6, s0
	s_addc_u32 s1, s7, s1
	s_mul_hi_u32 s3, s2, 0x6e
	s_mulk_i32 s2, 0x6e
	v_lshrrev_b32_e32 v2, 3, v0
	s_add_u32 s2, s4, s2
	v_lshlrev_b32_e32 v8, 2, v10
	v_mov_b32_e32 v9, v3
	s_addc_u32 s3, s5, s3
	v_lshlrev_b32_e32 v4, 3, v10
	v_mov_b32_e32 v5, v3
	v_lshl_add_u64 v[8:9], v[8:9], 0, v[2:3]
	v_lshl_add_u64 v[4:5], s[2:3], 0, v[4:5]
	v_lshlrev_b32_e32 v6, 1, v2
	v_mov_b32_e32 v7, v3
	v_bfe_u32 v1, v0, 1, 2
	v_lshl_add_u64 v[8:9], s[2:3], 0, v[8:9]
	v_lshl_add_u64 v[4:5], v[4:5], 0, v[6:7]
	global_load_ubyte v7, v1, s[2:3] offset:106
	global_load_sbyte v11, v[8:9], off offset:74
	s_nop 0
	global_load_ushort v1, v[4:5], off offset:2
	global_load_ubyte v2, v10, s[2:3] offset:66
	global_load_ushort v12, v3, s[2:3]
	v_sub_u32_e32 v4, 8, v6
	s_movk_i32 s4, 0x100
	v_sub_u32_e32 v5, 7, v6
	s_getpc_b64 s[2:3]
	s_add_u32 s2, s2, _ZL9iq3s_grid@rel32@lo+4
	s_addc_u32 s3, s3, _ZL9iq3s_grid@rel32@hi+12
	s_waitcnt vmcnt(3)
	v_and_b32_e32 v13, 8, v11
	s_waitcnt vmcnt(2)
	v_and_b32_e32 v6, 0xff, v1
	s_waitcnt vmcnt(1)
	v_lshlrev_b32_e32 v4, v4, v2
	v_lshrrev_b16_e32 v1, 8, v1
	v_lshlrev_b32_e32 v2, v5, v2
	v_and_or_b32 v4, v4, s4, v6
	v_and_or_b32 v1, v2, s4, v1
	v_lshlrev_b32_e32 v2, 2, v4
	v_lshlrev_b32_e32 v1, 2, v1
	global_load_dword v6, v2, s[2:3]
	global_load_dword v8, v1, s[2:3]
	v_mov_b32_e32 v1, v3
	v_and_b32_e32 v2, 0x3f8, v0
	v_lshlrev_b32_e32 v4, 2, v0
	v_lshlrev_b32_e32 v0, 6, v10
	;; [unrolled: 1-line block ×3, first 2 shown]
	v_and_b32_e32 v9, 4, v4
	v_lshl_add_u64 v[0:1], s[0:1], 0, v[0:1]
	v_lshl_add_u64 v[4:5], v[0:1], 0, v[2:3]
	s_waitcnt vmcnt(2)
	v_cvt_f32_f16_e32 v0, v12
	v_lshrrev_b32_e32 v1, v9, v7
	v_lshlrev_b32_e32 v1, 1, v1
	v_and_or_b32 v1, v1, 30, 1
	v_cvt_f32_ubyte0_e32 v1, v1
	v_and_b32_e32 v2, 1, v11
	v_mul_f32_e32 v0, v0, v1
	v_and_b32_e32 v3, 16, v11
	v_cmp_eq_u16_e32 vcc, 0, v2
	v_and_b32_e32 v7, 2, v11
	v_and_b32_e32 v9, 32, v11
	;; [unrolled: 1-line block ×4, first 2 shown]
	s_waitcnt vmcnt(1)
	v_cvt_f32_ubyte0_e32 v1, v6
	s_waitcnt vmcnt(0)
	v_cvt_f32_ubyte0_e32 v14, v8
	v_mul_f32_e32 v1, v0, v1
	v_cvt_f32_ubyte1_e32 v15, v6
	v_mul_f32_e32 v14, v0, v14
	v_cndmask_b32_e64 v1, -v1, v1, vcc
	v_cmp_eq_u16_e32 vcc, 0, v3
	v_cvt_f32_ubyte1_e32 v16, v8
	v_mul_f32_e32 v15, v0, v15
	v_cndmask_b32_e64 v2, -v14, v14, vcc
	v_cmp_eq_u16_e32 vcc, 0, v7
	v_cvt_f32_ubyte2_e32 v17, v6
	v_mul_f32_e32 v16, v0, v16
	v_cndmask_b32_e64 v3, -v15, v15, vcc
	v_cmp_eq_u16_e32 vcc, 0, v9
	v_cvt_f32_ubyte2_e32 v18, v8
	v_cvt_f32_ubyte3_e32 v6, v6
	v_cvt_f32_ubyte3_e32 v8, v8
	v_mul_f32_e32 v17, v0, v17
	v_cndmask_b32_e64 v7, -v16, v16, vcc
	v_cmp_eq_u16_e32 vcc, 0, v10
	v_mul_f32_e32 v18, v0, v18
	v_mul_f32_e32 v6, v0, v6
	;; [unrolled: 1-line block ×3, first 2 shown]
	v_cndmask_b32_e64 v8, -v17, v17, vcc
	v_cmp_eq_u16_e32 vcc, 0, v12
	v_cvt_f16_f32_e32 v10, v1
	v_cvt_f16_f32_e32 v1, v2
	v_cndmask_b32_e64 v9, -v18, v18, vcc
	v_cmp_eq_u16_e32 vcc, 0, v13
	v_cvt_f16_f32_e32 v2, v7
	v_cvt_f16_f32_e32 v7, v9
	v_cndmask_b32_e64 v6, -v6, v6, vcc
	v_cmp_gt_i16_e32 vcc, 0, v11
	v_cvt_f16_f32_e32 v8, v8
	v_cvt_f16_f32_e32 v6, v6
	v_cndmask_b32_e64 v0, v0, -v0, vcc
	v_cvt_f16_f32_e32 v0, v0
	v_cvt_f16_f32_e32 v9, v3
	v_pack_b32_f16 v2, v1, v2
	v_pack_b32_f16 v1, v8, v6
	;; [unrolled: 1-line block ×4, first 2 shown]
	global_store_dwordx4 v[4:5], v[0:3], off
	s_endpgm
	.section	.rodata,"a",@progbits
	.p2align	6, 0x0
	.amdhsa_kernel _ZL22dequantize_block_iq3_sI6__halfEvPKvPT_
		.amdhsa_group_segment_fixed_size 0
		.amdhsa_private_segment_fixed_size 0
		.amdhsa_kernarg_size 16
		.amdhsa_user_sgpr_count 2
		.amdhsa_user_sgpr_dispatch_ptr 0
		.amdhsa_user_sgpr_queue_ptr 0
		.amdhsa_user_sgpr_kernarg_segment_ptr 1
		.amdhsa_user_sgpr_dispatch_id 0
		.amdhsa_user_sgpr_kernarg_preload_length 0
		.amdhsa_user_sgpr_kernarg_preload_offset 0
		.amdhsa_user_sgpr_private_segment_size 0
		.amdhsa_uses_dynamic_stack 0
		.amdhsa_enable_private_segment 0
		.amdhsa_system_sgpr_workgroup_id_x 1
		.amdhsa_system_sgpr_workgroup_id_y 0
		.amdhsa_system_sgpr_workgroup_id_z 0
		.amdhsa_system_sgpr_workgroup_info 0
		.amdhsa_system_vgpr_workitem_id 0
		.amdhsa_next_free_vgpr 19
		.amdhsa_next_free_sgpr 8
		.amdhsa_accum_offset 20
		.amdhsa_reserve_vcc 1
		.amdhsa_float_round_mode_32 0
		.amdhsa_float_round_mode_16_64 0
		.amdhsa_float_denorm_mode_32 3
		.amdhsa_float_denorm_mode_16_64 3
		.amdhsa_dx10_clamp 1
		.amdhsa_ieee_mode 1
		.amdhsa_fp16_overflow 0
		.amdhsa_tg_split 0
		.amdhsa_exception_fp_ieee_invalid_op 0
		.amdhsa_exception_fp_denorm_src 0
		.amdhsa_exception_fp_ieee_div_zero 0
		.amdhsa_exception_fp_ieee_overflow 0
		.amdhsa_exception_fp_ieee_underflow 0
		.amdhsa_exception_fp_ieee_inexact 0
		.amdhsa_exception_int_div_zero 0
	.end_amdhsa_kernel
	.section	.text._ZL22dequantize_block_iq3_sI6__halfEvPKvPT_,"axG",@progbits,_ZL22dequantize_block_iq3_sI6__halfEvPKvPT_,comdat
.Lfunc_end17:
	.size	_ZL22dequantize_block_iq3_sI6__halfEvPKvPT_, .Lfunc_end17-_ZL22dequantize_block_iq3_sI6__halfEvPKvPT_
                                        ; -- End function
	.section	.AMDGPU.csdata,"",@progbits
; Kernel info:
; codeLenInByte = 620
; NumSgprs: 14
; NumVgprs: 19
; NumAgprs: 0
; TotalNumVgprs: 19
; ScratchSize: 0
; MemoryBound: 0
; FloatMode: 240
; IeeeMode: 1
; LDSByteSize: 0 bytes/workgroup (compile time only)
; SGPRBlocks: 1
; VGPRBlocks: 2
; NumSGPRsForWavesPerEU: 14
; NumVGPRsForWavesPerEU: 19
; AccumOffset: 20
; Occupancy: 8
; WaveLimiterHint : 0
; COMPUTE_PGM_RSRC2:SCRATCH_EN: 0
; COMPUTE_PGM_RSRC2:USER_SGPR: 2
; COMPUTE_PGM_RSRC2:TRAP_HANDLER: 0
; COMPUTE_PGM_RSRC2:TGID_X_EN: 1
; COMPUTE_PGM_RSRC2:TGID_Y_EN: 0
; COMPUTE_PGM_RSRC2:TGID_Z_EN: 0
; COMPUTE_PGM_RSRC2:TIDIG_COMP_CNT: 0
; COMPUTE_PGM_RSRC3_GFX90A:ACCUM_OFFSET: 4
; COMPUTE_PGM_RSRC3_GFX90A:TG_SPLIT: 0
	.section	.text._ZL22dequantize_block_mxfp4I6__halfEvPKvPT_,"axG",@progbits,_ZL22dequantize_block_mxfp4I6__halfEvPKvPT_,comdat
	.globl	_ZL22dequantize_block_mxfp4I6__halfEvPKvPT_ ; -- Begin function _ZL22dequantize_block_mxfp4I6__halfEvPKvPT_
	.p2align	8
	.type	_ZL22dequantize_block_mxfp4I6__halfEvPKvPT_,@function
_ZL22dequantize_block_mxfp4I6__halfEvPKvPT_: ; @_ZL22dequantize_block_mxfp4I6__halfEvPKvPT_
; %bb.0:
	s_load_dwordx4 s[4:7], s[0:1], 0x0
	s_mul_i32 s0, s2, 0x88
	s_mov_b32 s3, 0
	s_mul_hi_u32 s1, s2, 0x88
	v_and_b32_e32 v1, 7, v0
	s_waitcnt lgkmcnt(0)
	s_add_u32 s0, s4, s0
	s_addc_u32 s1, s5, s1
	s_lshl_b64 s[4:5], s[2:3], 9
	s_add_u32 s4, s6, s4
	s_addc_u32 s5, s7, s5
	v_lshlrev_b32_e32 v2, 6, v1
	v_mov_b32_e32 v3, 0
	v_lshrrev_b32_e32 v0, 1, v0
	v_lshl_add_u64 v[4:5], s[4:5], 0, v[2:3]
	v_and_b32_e32 v2, 0x1fc, v0
	v_mad_u64_u32 v[0:1], s[0:1], v1, 17, s[0:1]
	v_lshl_add_u64 v[6:7], v[0:1], 0, v[2:3]
	global_load_dword v9, v[6:7], off offset:1
	global_load_ubyte v12, v[0:1], off
	v_mov_b32_e32 v0, 4
	s_getpc_b64 s[0:1]
	s_add_u32 s0, s0, _ZL13kvalues_mxfp4@rel32@lo+4
	s_addc_u32 s1, s1, _ZL13kvalues_mxfp4@rel32@hi+12
	v_lshlrev_b32_e32 v8, 1, v2
	v_mov_b32_e32 v1, s3
	v_mov_b32_e32 v7, s3
	s_waitcnt vmcnt(1)
	v_lshrrev_b32_e32 v6, 8, v9
	v_lshrrev_b16_e32 v10, 4, v9
	v_lshrrev_b16_sdwa v2, v0, v9 dst_sel:DWORD dst_unused:UNUSED_PAD src0_sel:DWORD src1_sel:BYTE_3
	v_and_b32_e32 v0, 15, v10
	v_lshrrev_b16_e32 v6, 4, v6
	v_lshl_add_u64 v[10:11], v[2:3], 0, s[0:1]
	v_and_b32_e32 v0, 0xffff, v0
	v_and_b32_e32 v2, 15, v6
	;; [unrolled: 1-line block ×3, first 2 shown]
	v_lshl_add_u64 v[0:1], v[0:1], 0, s[0:1]
	v_and_b32_e32 v6, 0xffff, v2
	v_bfe_u32 v14, v9, 8, 4
	global_load_sbyte v13, v13, s[0:1]
	s_nop 0
	global_load_sbyte v2, v[0:1], off
	global_load_sbyte v18, v14, s[0:1]
	v_lshl_add_u64 v[0:1], v[6:7], 0, s[0:1]
	v_bfe_u32 v15, v9, 16, 4
	v_bfe_u32 v16, v9, 20, 4
	;; [unrolled: 1-line block ×3, first 2 shown]
	global_load_sbyte v6, v[0:1], off
	global_load_sbyte v7, v15, s[0:1]
	global_load_sbyte v14, v16, s[0:1]
	;; [unrolled: 1-line block ×3, first 2 shown]
	global_load_sbyte v20, v[10:11], off
	v_mov_b32_e32 v9, v3
	v_mov_b32_e32 v10, 0x400000
	v_lshl_add_u64 v[0:1], v[4:5], 0, v[8:9]
	s_waitcnt vmcnt(8)
	v_lshlrev_b32_e32 v3, 23, v12
	v_cmp_ne_u32_e32 vcc, 0, v12
	s_mov_b32 s0, 0.5
	s_waitcnt vmcnt(7)
	v_cvt_f32_i32_e32 v4, v13
	v_cndmask_b32_e32 v3, v10, v3, vcc
	s_waitcnt vmcnt(6)
	v_cvt_f32_i32_e32 v5, v2
	s_waitcnt vmcnt(3)
	v_cvt_f32_i32_e32 v7, v7
	v_cvt_f32_i32_e32 v8, v18
	;; [unrolled: 1-line block ×3, first 2 shown]
	s_waitcnt vmcnt(2)
	v_cvt_f32_i32_e32 v9, v14
	s_waitcnt vmcnt(1)
	v_cvt_f32_i32_e32 v10, v19
	;; [unrolled: 2-line block ×3, first 2 shown]
	v_mul_f32_e32 v2, v3, v4
	v_mul_f32_e32 v7, v3, v7
	v_fma_mixlo_f16 v2, v2, s0, 0
	v_mul_f32_e32 v4, v3, v5
	v_mul_f32_e32 v5, v3, v8
	;; [unrolled: 1-line block ×6, first 2 shown]
	v_fma_mixlo_f16 v3, v7, s0, 0
	v_fma_mixlo_f16 v4, v4, s0, 0
	v_fma_mixhi_f16 v2, v5, s0, 0
	v_fma_mixlo_f16 v5, v8, s0, 0
	v_fma_mixhi_f16 v3, v9, s0, 0
	v_fma_mixhi_f16 v4, v6, s0, 0
	;; [unrolled: 1-line block ×3, first 2 shown]
	global_store_dwordx2 v[0:1], v[2:3], off
	global_store_dwordx2 v[0:1], v[4:5], off offset:32
	s_endpgm
	.section	.rodata,"a",@progbits
	.p2align	6, 0x0
	.amdhsa_kernel _ZL22dequantize_block_mxfp4I6__halfEvPKvPT_
		.amdhsa_group_segment_fixed_size 0
		.amdhsa_private_segment_fixed_size 0
		.amdhsa_kernarg_size 16
		.amdhsa_user_sgpr_count 2
		.amdhsa_user_sgpr_dispatch_ptr 0
		.amdhsa_user_sgpr_queue_ptr 0
		.amdhsa_user_sgpr_kernarg_segment_ptr 1
		.amdhsa_user_sgpr_dispatch_id 0
		.amdhsa_user_sgpr_kernarg_preload_length 0
		.amdhsa_user_sgpr_kernarg_preload_offset 0
		.amdhsa_user_sgpr_private_segment_size 0
		.amdhsa_uses_dynamic_stack 0
		.amdhsa_enable_private_segment 0
		.amdhsa_system_sgpr_workgroup_id_x 1
		.amdhsa_system_sgpr_workgroup_id_y 0
		.amdhsa_system_sgpr_workgroup_id_z 0
		.amdhsa_system_sgpr_workgroup_info 0
		.amdhsa_system_vgpr_workitem_id 0
		.amdhsa_next_free_vgpr 21
		.amdhsa_next_free_sgpr 8
		.amdhsa_accum_offset 24
		.amdhsa_reserve_vcc 1
		.amdhsa_float_round_mode_32 0
		.amdhsa_float_round_mode_16_64 0
		.amdhsa_float_denorm_mode_32 3
		.amdhsa_float_denorm_mode_16_64 3
		.amdhsa_dx10_clamp 1
		.amdhsa_ieee_mode 1
		.amdhsa_fp16_overflow 0
		.amdhsa_tg_split 0
		.amdhsa_exception_fp_ieee_invalid_op 0
		.amdhsa_exception_fp_denorm_src 0
		.amdhsa_exception_fp_ieee_div_zero 0
		.amdhsa_exception_fp_ieee_overflow 0
		.amdhsa_exception_fp_ieee_underflow 0
		.amdhsa_exception_fp_ieee_inexact 0
		.amdhsa_exception_int_div_zero 0
	.end_amdhsa_kernel
	.section	.text._ZL22dequantize_block_mxfp4I6__halfEvPKvPT_,"axG",@progbits,_ZL22dequantize_block_mxfp4I6__halfEvPKvPT_,comdat
.Lfunc_end18:
	.size	_ZL22dequantize_block_mxfp4I6__halfEvPKvPT_, .Lfunc_end18-_ZL22dequantize_block_mxfp4I6__halfEvPKvPT_
                                        ; -- End function
	.section	.AMDGPU.csdata,"",@progbits
; Kernel info:
; codeLenInByte = 540
; NumSgprs: 14
; NumVgprs: 21
; NumAgprs: 0
; TotalNumVgprs: 21
; ScratchSize: 0
; MemoryBound: 0
; FloatMode: 240
; IeeeMode: 1
; LDSByteSize: 0 bytes/workgroup (compile time only)
; SGPRBlocks: 1
; VGPRBlocks: 2
; NumSGPRsForWavesPerEU: 14
; NumVGPRsForWavesPerEU: 21
; AccumOffset: 24
; Occupancy: 8
; WaveLimiterHint : 0
; COMPUTE_PGM_RSRC2:SCRATCH_EN: 0
; COMPUTE_PGM_RSRC2:USER_SGPR: 2
; COMPUTE_PGM_RSRC2:TRAP_HANDLER: 0
; COMPUTE_PGM_RSRC2:TGID_X_EN: 1
; COMPUTE_PGM_RSRC2:TGID_Y_EN: 0
; COMPUTE_PGM_RSRC2:TGID_Z_EN: 0
; COMPUTE_PGM_RSRC2:TIDIG_COMP_CNT: 0
; COMPUTE_PGM_RSRC3_GFX90A:ACCUM_OFFSET: 5
; COMPUTE_PGM_RSRC3_GFX90A:TG_SPLIT: 0
	.section	.text._ZL22dequantize_block_nvfp4I6__halfEvPKvPT_l,"axG",@progbits,_ZL22dequantize_block_nvfp4I6__halfEvPKvPT_l,comdat
	.globl	_ZL22dequantize_block_nvfp4I6__halfEvPKvPT_l ; -- Begin function _ZL22dequantize_block_nvfp4I6__halfEvPKvPT_l
	.p2align	8
	.type	_ZL22dequantize_block_nvfp4I6__halfEvPKvPT_l,@function
_ZL22dequantize_block_nvfp4I6__halfEvPKvPT_l: ; @_ZL22dequantize_block_nvfp4I6__halfEvPKvPT_l
; %bb.0:
	s_load_dwordx2 s[4:5], s[0:1], 0x10
	s_mov_b32 s3, 0
	s_lshl_b64 s[8:9], s[2:3], 6
	s_waitcnt lgkmcnt(0)
	v_mov_b64_e32 v[2:3], s[4:5]
	v_cmp_ge_i64_e32 vcc, s[8:9], v[2:3]
	s_cbranch_vccnz .LBB19_2
; %bb.1:
	s_load_dwordx4 s[4:7], s[0:1], 0x0
	s_mul_i32 s0, s2, 36
	s_mul_hi_u32 s1, s2, 36
	v_lshrrev_b32_e32 v2, 3, v0
	s_waitcnt lgkmcnt(0)
	s_add_u32 s0, s4, s0
	s_addc_u32 s1, s5, s1
	global_load_ubyte v1, v0, s[0:1] offset:4
	global_load_ubyte v4, v2, s[0:1]
	s_getpc_b64 s[0:1]
	s_add_u32 s0, s0, _ZL13kvalues_mxfp4@rel32@lo+4
	s_addc_u32 s1, s1, _ZL13kvalues_mxfp4@rel32@hi+12
	v_lshlrev_b32_e32 v2, 4, v2
	s_waitcnt vmcnt(1)
	v_and_b32_e32 v3, 15, v1
	v_lshrrev_b32_e32 v1, 4, v1
	global_load_sbyte v5, v3, s[0:1]
	global_load_sbyte v6, v1, s[0:1]
	v_mov_b32_e32 v3, 0
	v_lshl_add_u64 v[2:3], s[8:9], 0, v[2:3]
	s_movk_i32 s0, 0x7f
	v_and_or_b32 v2, v0, 7, v2
	s_waitcnt vmcnt(2)
	v_and_b32_e32 v0, 0x7f, v4
	v_cmp_ne_u16_e32 vcc, s0, v0
	s_waitcnt vmcnt(1)
	v_cvt_f32_i32_e32 v5, v5
	v_cndmask_b32_e32 v0, 0, v4, vcc
	v_and_b32_e32 v0, 0xffff, v0
	v_cvt_f32_fp8_sdwa v4, v0 src0_sel:BYTE_0
	s_waitcnt vmcnt(0)
	v_cvt_f32_i32_e32 v6, v6
	v_lshl_add_u64 v[0:1], v[2:3], 1, s[6:7]
	v_mul_f32_e32 v2, 0.5, v4
	v_fma_mixlo_f16 v3, v2, v5, 0
	v_fma_mixlo_f16 v2, v2, v6, 0
	global_store_short v[0:1], v3, off
	global_store_short v[0:1], v2, off offset:16
.LBB19_2:
	s_endpgm
	.section	.rodata,"a",@progbits
	.p2align	6, 0x0
	.amdhsa_kernel _ZL22dequantize_block_nvfp4I6__halfEvPKvPT_l
		.amdhsa_group_segment_fixed_size 0
		.amdhsa_private_segment_fixed_size 0
		.amdhsa_kernarg_size 24
		.amdhsa_user_sgpr_count 2
		.amdhsa_user_sgpr_dispatch_ptr 0
		.amdhsa_user_sgpr_queue_ptr 0
		.amdhsa_user_sgpr_kernarg_segment_ptr 1
		.amdhsa_user_sgpr_dispatch_id 0
		.amdhsa_user_sgpr_kernarg_preload_length 0
		.amdhsa_user_sgpr_kernarg_preload_offset 0
		.amdhsa_user_sgpr_private_segment_size 0
		.amdhsa_uses_dynamic_stack 0
		.amdhsa_enable_private_segment 0
		.amdhsa_system_sgpr_workgroup_id_x 1
		.amdhsa_system_sgpr_workgroup_id_y 0
		.amdhsa_system_sgpr_workgroup_id_z 0
		.amdhsa_system_sgpr_workgroup_info 0
		.amdhsa_system_vgpr_workitem_id 0
		.amdhsa_next_free_vgpr 7
		.amdhsa_next_free_sgpr 10
		.amdhsa_accum_offset 8
		.amdhsa_reserve_vcc 1
		.amdhsa_float_round_mode_32 0
		.amdhsa_float_round_mode_16_64 0
		.amdhsa_float_denorm_mode_32 3
		.amdhsa_float_denorm_mode_16_64 3
		.amdhsa_dx10_clamp 1
		.amdhsa_ieee_mode 1
		.amdhsa_fp16_overflow 0
		.amdhsa_tg_split 0
		.amdhsa_exception_fp_ieee_invalid_op 0
		.amdhsa_exception_fp_denorm_src 0
		.amdhsa_exception_fp_ieee_div_zero 0
		.amdhsa_exception_fp_ieee_overflow 0
		.amdhsa_exception_fp_ieee_underflow 0
		.amdhsa_exception_fp_ieee_inexact 0
		.amdhsa_exception_int_div_zero 0
	.end_amdhsa_kernel
	.section	.text._ZL22dequantize_block_nvfp4I6__halfEvPKvPT_l,"axG",@progbits,_ZL22dequantize_block_nvfp4I6__halfEvPKvPT_l,comdat
.Lfunc_end19:
	.size	_ZL22dequantize_block_nvfp4I6__halfEvPKvPT_l, .Lfunc_end19-_ZL22dequantize_block_nvfp4I6__halfEvPKvPT_l
                                        ; -- End function
	.section	.AMDGPU.csdata,"",@progbits
; Kernel info:
; codeLenInByte = 256
; NumSgprs: 16
; NumVgprs: 7
; NumAgprs: 0
; TotalNumVgprs: 7
; ScratchSize: 0
; MemoryBound: 0
; FloatMode: 240
; IeeeMode: 1
; LDSByteSize: 0 bytes/workgroup (compile time only)
; SGPRBlocks: 1
; VGPRBlocks: 0
; NumSGPRsForWavesPerEU: 16
; NumVGPRsForWavesPerEU: 7
; AccumOffset: 8
; Occupancy: 8
; WaveLimiterHint : 0
; COMPUTE_PGM_RSRC2:SCRATCH_EN: 0
; COMPUTE_PGM_RSRC2:USER_SGPR: 2
; COMPUTE_PGM_RSRC2:TRAP_HANDLER: 0
; COMPUTE_PGM_RSRC2:TGID_X_EN: 1
; COMPUTE_PGM_RSRC2:TGID_Y_EN: 0
; COMPUTE_PGM_RSRC2:TGID_Z_EN: 0
; COMPUTE_PGM_RSRC2:TIDIG_COMP_CNT: 0
; COMPUTE_PGM_RSRC3_GFX90A:ACCUM_OFFSET: 1
; COMPUTE_PGM_RSRC3_GFX90A:TG_SPLIT: 0
	.section	.text._ZL21dequantize_block_q4_0IfEvPKvPT_i,"axG",@progbits,_ZL21dequantize_block_q4_0IfEvPKvPT_i,comdat
	.globl	_ZL21dequantize_block_q4_0IfEvPKvPT_i ; -- Begin function _ZL21dequantize_block_q4_0IfEvPKvPT_i
	.p2align	8
	.type	_ZL21dequantize_block_q4_0IfEvPKvPT_i,@function
_ZL21dequantize_block_q4_0IfEvPKvPT_i:  ; @_ZL21dequantize_block_q4_0IfEvPKvPT_i
; %bb.0:
	s_load_dword s4, s[0:1], 0x10
	s_mov_b32 s3, 0
	v_and_b32_e32 v2, 7, v0
	s_lshl_b64 s[6:7], s[2:3], 3
	v_mov_b32_e32 v5, s7
	s_waitcnt lgkmcnt(0)
	s_ashr_i32 s5, s4, 31
	v_or_b32_e32 v4, s6, v2
	v_mov_b32_e32 v3, 0
	v_cmp_gt_i64_e32 vcc, s[4:5], v[4:5]
	s_and_saveexec_b64 s[4:5], vcc
	s_cbranch_execz .LBB20_2
; %bb.1:
	s_load_dwordx4 s[4:7], s[0:1], 0x0
	s_lshl_b64 s[0:1], s[2:3], 10
	v_lshlrev_b32_e32 v2, 7, v2
	v_lshrrev_b32_e32 v6, 1, v0
	s_waitcnt lgkmcnt(0)
	s_add_u32 s0, s6, s0
	s_addc_u32 s1, s7, s1
	v_lshl_add_u64 v[0:1], s[0:1], 0, v[2:3]
	v_and_b32_e32 v2, 0x1fc, v6
	v_mad_u64_u32 v[6:7], s[0:1], v4, 18, s[4:5]
	v_mad_u32_u24 v7, v5, 18, v7
	v_lshl_add_u64 v[4:5], v[6:7], 0, v[2:3]
	global_load_ushort v10, v[6:7], off
	global_load_dword v11, v[4:5], off offset:2
	v_lshlrev_b32_e32 v2, 2, v2
	v_lshl_add_u64 v[8:9], v[0:1], 0, v[2:3]
	v_mov_b32_e32 v4, 4
	s_waitcnt vmcnt(1)
	v_cvt_f32_f16_e32 v0, v10
	s_waitcnt vmcnt(0)
	v_lshrrev_b32_e32 v1, 8, v11
	v_lshrrev_b16_e32 v3, 4, v11
	v_bfe_u32 v5, v11, 8, 4
	v_lshrrev_b16_e32 v1, 4, v1
	v_and_b32_e32 v2, 15, v11
	v_bfe_u32 v6, v11, 16, 4
	v_bfe_u32 v7, v11, 20, 4
	;; [unrolled: 1-line block ×3, first 2 shown]
	v_lshrrev_b16_sdwa v4, v4, v11 dst_sel:DWORD dst_unused:UNUSED_PAD src0_sel:DWORD src1_sel:BYTE_3
	v_and_b32_e32 v3, 15, v3
	v_cvt_f32_ubyte0_e32 v5, v5
	v_mul_f32_e32 v13, 0xc1000000, v0
	v_and_b32_e32 v14, 15, v1
	v_cvt_f32_ubyte0_e32 v2, v2
	v_cvt_f32_ubyte0_e32 v6, v6
	;; [unrolled: 1-line block ×6, first 2 shown]
	v_fma_mix_f32 v1, v10, v5, v13 op_sel_hi:[1,0,0]
	v_cvt_f32_ubyte0_e32 v5, v14
	v_fma_mix_f32 v0, v10, v2, v13 op_sel_hi:[1,0,0]
	v_fma_mix_f32 v4, v10, v3, v13 op_sel_hi:[1,0,0]
	;; [unrolled: 1-line block ×7, first 2 shown]
	global_store_dwordx4 v[8:9], v[0:3], off
	global_store_dwordx4 v[8:9], v[4:7], off offset:64
.LBB20_2:
	s_endpgm
	.section	.rodata,"a",@progbits
	.p2align	6, 0x0
	.amdhsa_kernel _ZL21dequantize_block_q4_0IfEvPKvPT_i
		.amdhsa_group_segment_fixed_size 0
		.amdhsa_private_segment_fixed_size 0
		.amdhsa_kernarg_size 20
		.amdhsa_user_sgpr_count 2
		.amdhsa_user_sgpr_dispatch_ptr 0
		.amdhsa_user_sgpr_queue_ptr 0
		.amdhsa_user_sgpr_kernarg_segment_ptr 1
		.amdhsa_user_sgpr_dispatch_id 0
		.amdhsa_user_sgpr_kernarg_preload_length 0
		.amdhsa_user_sgpr_kernarg_preload_offset 0
		.amdhsa_user_sgpr_private_segment_size 0
		.amdhsa_uses_dynamic_stack 0
		.amdhsa_enable_private_segment 0
		.amdhsa_system_sgpr_workgroup_id_x 1
		.amdhsa_system_sgpr_workgroup_id_y 0
		.amdhsa_system_sgpr_workgroup_id_z 0
		.amdhsa_system_sgpr_workgroup_info 0
		.amdhsa_system_vgpr_workitem_id 0
		.amdhsa_next_free_vgpr 15
		.amdhsa_next_free_sgpr 8
		.amdhsa_accum_offset 16
		.amdhsa_reserve_vcc 1
		.amdhsa_float_round_mode_32 0
		.amdhsa_float_round_mode_16_64 0
		.amdhsa_float_denorm_mode_32 3
		.amdhsa_float_denorm_mode_16_64 3
		.amdhsa_dx10_clamp 1
		.amdhsa_ieee_mode 1
		.amdhsa_fp16_overflow 0
		.amdhsa_tg_split 0
		.amdhsa_exception_fp_ieee_invalid_op 0
		.amdhsa_exception_fp_denorm_src 0
		.amdhsa_exception_fp_ieee_div_zero 0
		.amdhsa_exception_fp_ieee_overflow 0
		.amdhsa_exception_fp_ieee_underflow 0
		.amdhsa_exception_fp_ieee_inexact 0
		.amdhsa_exception_int_div_zero 0
	.end_amdhsa_kernel
	.section	.text._ZL21dequantize_block_q4_0IfEvPKvPT_i,"axG",@progbits,_ZL21dequantize_block_q4_0IfEvPKvPT_i,comdat
.Lfunc_end20:
	.size	_ZL21dequantize_block_q4_0IfEvPKvPT_i, .Lfunc_end20-_ZL21dequantize_block_q4_0IfEvPKvPT_i
                                        ; -- End function
	.section	.AMDGPU.csdata,"",@progbits
; Kernel info:
; codeLenInByte = 356
; NumSgprs: 14
; NumVgprs: 15
; NumAgprs: 0
; TotalNumVgprs: 15
; ScratchSize: 0
; MemoryBound: 0
; FloatMode: 240
; IeeeMode: 1
; LDSByteSize: 0 bytes/workgroup (compile time only)
; SGPRBlocks: 1
; VGPRBlocks: 1
; NumSGPRsForWavesPerEU: 14
; NumVGPRsForWavesPerEU: 15
; AccumOffset: 16
; Occupancy: 8
; WaveLimiterHint : 0
; COMPUTE_PGM_RSRC2:SCRATCH_EN: 0
; COMPUTE_PGM_RSRC2:USER_SGPR: 2
; COMPUTE_PGM_RSRC2:TRAP_HANDLER: 0
; COMPUTE_PGM_RSRC2:TGID_X_EN: 1
; COMPUTE_PGM_RSRC2:TGID_Y_EN: 0
; COMPUTE_PGM_RSRC2:TGID_Z_EN: 0
; COMPUTE_PGM_RSRC2:TIDIG_COMP_CNT: 0
; COMPUTE_PGM_RSRC3_GFX90A:ACCUM_OFFSET: 3
; COMPUTE_PGM_RSRC3_GFX90A:TG_SPLIT: 0
	.section	.text._ZL21dequantize_block_q4_1IfEvPKvPT_i,"axG",@progbits,_ZL21dequantize_block_q4_1IfEvPKvPT_i,comdat
	.globl	_ZL21dequantize_block_q4_1IfEvPKvPT_i ; -- Begin function _ZL21dequantize_block_q4_1IfEvPKvPT_i
	.p2align	8
	.type	_ZL21dequantize_block_q4_1IfEvPKvPT_i,@function
_ZL21dequantize_block_q4_1IfEvPKvPT_i:  ; @_ZL21dequantize_block_q4_1IfEvPKvPT_i
; %bb.0:
	s_load_dword s4, s[0:1], 0x10
	s_mov_b32 s3, 0
	v_and_b32_e32 v2, 7, v0
	s_lshl_b64 s[6:7], s[2:3], 3
	v_mov_b32_e32 v5, s7
	s_waitcnt lgkmcnt(0)
	s_ashr_i32 s5, s4, 31
	v_or_b32_e32 v4, s6, v2
	v_mov_b32_e32 v3, 0
	v_cmp_gt_i64_e32 vcc, s[4:5], v[4:5]
	s_and_saveexec_b64 s[4:5], vcc
	s_cbranch_execz .LBB21_2
; %bb.1:
	s_load_dwordx4 s[4:7], s[0:1], 0x0
	s_lshl_b64 s[0:1], s[2:3], 10
	v_lshlrev_b32_e32 v2, 7, v2
	v_lshrrev_b32_e32 v6, 1, v0
	s_waitcnt lgkmcnt(0)
	s_add_u32 s0, s6, s0
	s_addc_u32 s1, s7, s1
	v_lshl_add_u64 v[0:1], s[0:1], 0, v[2:3]
	v_and_b32_e32 v2, 0x1fc, v6
	v_mad_u64_u32 v[6:7], s[0:1], v4, 20, s[4:5]
	v_mad_u32_u24 v7, v5, 20, v7
	v_lshl_add_u64 v[4:5], v[6:7], 0, v[2:3]
	global_load_dword v10, v[4:5], off offset:4
	global_load_dword v11, v[6:7], off
	v_lshlrev_b32_e32 v2, 2, v2
	v_mov_b32_e32 v4, 4
	v_lshl_add_u64 v[8:9], v[0:1], 0, v[2:3]
	s_waitcnt vmcnt(1)
	v_lshrrev_b32_e32 v0, 8, v10
	v_and_b32_e32 v1, 15, v10
	v_lshrrev_b16_e32 v2, 4, v10
	v_bfe_u32 v3, v10, 8, 4
	v_bfe_u32 v5, v10, 16, 4
	v_bfe_u32 v6, v10, 20, 4
	v_bfe_u32 v7, v10, 24, 4
	v_lshrrev_b16_sdwa v4, v4, v10 dst_sel:DWORD dst_unused:UNUSED_PAD src0_sel:DWORD src1_sel:BYTE_3
	v_lshrrev_b16_e32 v10, 4, v0
	v_and_b32_e32 v2, 15, v2
	v_cvt_f32_ubyte0_e32 v5, v5
	v_and_b32_e32 v10, 15, v10
	v_cvt_f32_ubyte0_e32 v1, v1
	v_cvt_f32_ubyte0_e32 v3, v3
	;; [unrolled: 1-line block ×6, first 2 shown]
	s_waitcnt vmcnt(0)
	v_fma_mix_f32 v2, v11, v5, v11 op_sel:[0,0,1] op_sel_hi:[1,0,1]
	v_cvt_f32_ubyte0_e32 v5, v10
	v_fma_mix_f32 v0, v11, v1, v11 op_sel:[0,0,1] op_sel_hi:[1,0,1]
	v_fma_mix_f32 v1, v11, v3, v11 op_sel:[0,0,1] op_sel_hi:[1,0,1]
	;; [unrolled: 1-line block ×7, first 2 shown]
	global_store_dwordx4 v[8:9], v[0:3], off
	global_store_dwordx4 v[8:9], v[4:7], off offset:64
.LBB21_2:
	s_endpgm
	.section	.rodata,"a",@progbits
	.p2align	6, 0x0
	.amdhsa_kernel _ZL21dequantize_block_q4_1IfEvPKvPT_i
		.amdhsa_group_segment_fixed_size 0
		.amdhsa_private_segment_fixed_size 0
		.amdhsa_kernarg_size 20
		.amdhsa_user_sgpr_count 2
		.amdhsa_user_sgpr_dispatch_ptr 0
		.amdhsa_user_sgpr_queue_ptr 0
		.amdhsa_user_sgpr_kernarg_segment_ptr 1
		.amdhsa_user_sgpr_dispatch_id 0
		.amdhsa_user_sgpr_kernarg_preload_length 0
		.amdhsa_user_sgpr_kernarg_preload_offset 0
		.amdhsa_user_sgpr_private_segment_size 0
		.amdhsa_uses_dynamic_stack 0
		.amdhsa_enable_private_segment 0
		.amdhsa_system_sgpr_workgroup_id_x 1
		.amdhsa_system_sgpr_workgroup_id_y 0
		.amdhsa_system_sgpr_workgroup_id_z 0
		.amdhsa_system_sgpr_workgroup_info 0
		.amdhsa_system_vgpr_workitem_id 0
		.amdhsa_next_free_vgpr 13
		.amdhsa_next_free_sgpr 8
		.amdhsa_accum_offset 16
		.amdhsa_reserve_vcc 1
		.amdhsa_float_round_mode_32 0
		.amdhsa_float_round_mode_16_64 0
		.amdhsa_float_denorm_mode_32 3
		.amdhsa_float_denorm_mode_16_64 3
		.amdhsa_dx10_clamp 1
		.amdhsa_ieee_mode 1
		.amdhsa_fp16_overflow 0
		.amdhsa_tg_split 0
		.amdhsa_exception_fp_ieee_invalid_op 0
		.amdhsa_exception_fp_denorm_src 0
		.amdhsa_exception_fp_ieee_div_zero 0
		.amdhsa_exception_fp_ieee_overflow 0
		.amdhsa_exception_fp_ieee_underflow 0
		.amdhsa_exception_fp_ieee_inexact 0
		.amdhsa_exception_int_div_zero 0
	.end_amdhsa_kernel
	.section	.text._ZL21dequantize_block_q4_1IfEvPKvPT_i,"axG",@progbits,_ZL21dequantize_block_q4_1IfEvPKvPT_i,comdat
.Lfunc_end21:
	.size	_ZL21dequantize_block_q4_1IfEvPKvPT_i, .Lfunc_end21-_ZL21dequantize_block_q4_1IfEvPKvPT_i
                                        ; -- End function
	.section	.AMDGPU.csdata,"",@progbits
; Kernel info:
; codeLenInByte = 344
; NumSgprs: 14
; NumVgprs: 13
; NumAgprs: 0
; TotalNumVgprs: 13
; ScratchSize: 0
; MemoryBound: 0
; FloatMode: 240
; IeeeMode: 1
; LDSByteSize: 0 bytes/workgroup (compile time only)
; SGPRBlocks: 1
; VGPRBlocks: 1
; NumSGPRsForWavesPerEU: 14
; NumVGPRsForWavesPerEU: 13
; AccumOffset: 16
; Occupancy: 8
; WaveLimiterHint : 0
; COMPUTE_PGM_RSRC2:SCRATCH_EN: 0
; COMPUTE_PGM_RSRC2:USER_SGPR: 2
; COMPUTE_PGM_RSRC2:TRAP_HANDLER: 0
; COMPUTE_PGM_RSRC2:TGID_X_EN: 1
; COMPUTE_PGM_RSRC2:TGID_Y_EN: 0
; COMPUTE_PGM_RSRC2:TGID_Z_EN: 0
; COMPUTE_PGM_RSRC2:TIDIG_COMP_CNT: 0
; COMPUTE_PGM_RSRC3_GFX90A:ACCUM_OFFSET: 3
; COMPUTE_PGM_RSRC3_GFX90A:TG_SPLIT: 0
	.section	.text._ZL21dequantize_block_q2_KIfEvPKvPT_,"axG",@progbits,_ZL21dequantize_block_q2_KIfEvPKvPT_,comdat
	.globl	_ZL21dequantize_block_q2_KIfEvPKvPT_ ; -- Begin function _ZL21dequantize_block_q2_KIfEvPKvPT_
	.p2align	8
	.type	_ZL21dequantize_block_q2_KIfEvPKvPT_,@function
_ZL21dequantize_block_q2_KIfEvPKvPT_:   ; @_ZL21dequantize_block_q2_KIfEvPKvPT_
; %bb.0:
	s_load_dwordx4 s[4:7], s[0:1], 0x0
	s_mul_i32 s0, s2, 0x54
	v_lshrrev_b32_e32 v2, 5, v0
	v_bfe_u32 v1, v0, 4, 1
	s_mul_hi_u32 s1, s2, 0x54
	s_waitcnt lgkmcnt(0)
	s_add_u32 s0, s4, s0
	v_lshl_or_b32 v1, v2, 3, v1
	s_addc_u32 s1, s5, s1
	global_load_ubyte v4, v1, s[0:1]
	global_load_ubyte v5, v0, s[0:1] offset:16
	global_load_ubyte v6, v1, s[0:1] offset:2
	global_load_ubyte v7, v1, s[0:1] offset:4
	global_load_ubyte v8, v1, s[0:1] offset:6
	s_load_dword s4, s[0:1], 0x50
	s_mov_b32 s3, 0
	s_lshl_b64 s[0:1], s[2:3], 10
	s_add_u32 s0, s6, s0
	v_mov_b32_e32 v1, 0
	v_and_b32_e32 v9, 31, v0
	v_lshlrev_b32_e32 v0, 9, v2
	s_addc_u32 s1, s7, s1
	v_lshl_add_u64 v[2:3], s[0:1], 0, v[0:1]
	v_lshlrev_b32_e32 v0, 2, v9
	s_waitcnt lgkmcnt(0)
	s_lshr_b32 s0, s4, 16
	v_lshl_add_u64 v[0:1], v[2:3], 0, v[0:1]
	v_cvt_f32_f16_e32 v2, s4
	v_cvt_f32_f16_e32 v3, s0
	s_waitcnt vmcnt(4)
	v_and_b32_e32 v9, 15, v4
	v_lshrrev_b32_e32 v4, 4, v4
	s_waitcnt vmcnt(3)
	v_and_b32_e32 v10, 3, v5
	s_waitcnt vmcnt(2)
	v_and_b32_e32 v11, 15, v6
	v_lshrrev_b32_e32 v6, 4, v6
	s_waitcnt vmcnt(1)
	v_and_b32_e32 v13, 15, v7
	v_lshrrev_b32_e32 v7, 4, v7
	;; [unrolled: 3-line block ×3, first 2 shown]
	v_cvt_f32_ubyte0_e32 v9, v9
	v_cvt_f32_ubyte0_e32 v4, v4
	v_bfe_u32 v12, v5, 2, 2
	v_bfe_u32 v14, v5, 4, 2
	v_lshrrev_b32_e32 v5, 6, v5
	v_cvt_f32_ubyte0_e32 v10, v10
	v_cvt_f32_ubyte0_e32 v11, v11
	;; [unrolled: 1-line block ×7, first 2 shown]
	v_mul_f32_e32 v9, v2, v9
	v_mul_f32_e32 v4, v3, v4
	v_cvt_f32_ubyte0_e32 v12, v12
	v_cvt_f32_ubyte0_e32 v14, v14
	;; [unrolled: 1-line block ×3, first 2 shown]
	v_mul_f32_e32 v11, v2, v11
	v_mul_f32_e32 v6, v3, v6
	;; [unrolled: 1-line block ×6, first 2 shown]
	v_fma_f32 v4, v9, v10, -v4
	v_fma_f32 v6, v11, v12, -v6
	;; [unrolled: 1-line block ×4, first 2 shown]
	global_store_dword v[0:1], v4, off
	global_store_dword v[0:1], v6, off offset:128
	global_store_dword v[0:1], v7, off offset:256
	;; [unrolled: 1-line block ×3, first 2 shown]
	s_endpgm
	.section	.rodata,"a",@progbits
	.p2align	6, 0x0
	.amdhsa_kernel _ZL21dequantize_block_q2_KIfEvPKvPT_
		.amdhsa_group_segment_fixed_size 0
		.amdhsa_private_segment_fixed_size 0
		.amdhsa_kernarg_size 16
		.amdhsa_user_sgpr_count 2
		.amdhsa_user_sgpr_dispatch_ptr 0
		.amdhsa_user_sgpr_queue_ptr 0
		.amdhsa_user_sgpr_kernarg_segment_ptr 1
		.amdhsa_user_sgpr_dispatch_id 0
		.amdhsa_user_sgpr_kernarg_preload_length 0
		.amdhsa_user_sgpr_kernarg_preload_offset 0
		.amdhsa_user_sgpr_private_segment_size 0
		.amdhsa_uses_dynamic_stack 0
		.amdhsa_enable_private_segment 0
		.amdhsa_system_sgpr_workgroup_id_x 1
		.amdhsa_system_sgpr_workgroup_id_y 0
		.amdhsa_system_sgpr_workgroup_id_z 0
		.amdhsa_system_sgpr_workgroup_info 0
		.amdhsa_system_vgpr_workitem_id 0
		.amdhsa_next_free_vgpr 16
		.amdhsa_next_free_sgpr 8
		.amdhsa_accum_offset 16
		.amdhsa_reserve_vcc 0
		.amdhsa_float_round_mode_32 0
		.amdhsa_float_round_mode_16_64 0
		.amdhsa_float_denorm_mode_32 3
		.amdhsa_float_denorm_mode_16_64 3
		.amdhsa_dx10_clamp 1
		.amdhsa_ieee_mode 1
		.amdhsa_fp16_overflow 0
		.amdhsa_tg_split 0
		.amdhsa_exception_fp_ieee_invalid_op 0
		.amdhsa_exception_fp_denorm_src 0
		.amdhsa_exception_fp_ieee_div_zero 0
		.amdhsa_exception_fp_ieee_overflow 0
		.amdhsa_exception_fp_ieee_underflow 0
		.amdhsa_exception_fp_ieee_inexact 0
		.amdhsa_exception_int_div_zero 0
	.end_amdhsa_kernel
	.section	.text._ZL21dequantize_block_q2_KIfEvPKvPT_,"axG",@progbits,_ZL21dequantize_block_q2_KIfEvPKvPT_,comdat
.Lfunc_end22:
	.size	_ZL21dequantize_block_q2_KIfEvPKvPT_, .Lfunc_end22-_ZL21dequantize_block_q2_KIfEvPKvPT_
                                        ; -- End function
	.section	.AMDGPU.csdata,"",@progbits
; Kernel info:
; codeLenInByte = 392
; NumSgprs: 14
; NumVgprs: 16
; NumAgprs: 0
; TotalNumVgprs: 16
; ScratchSize: 0
; MemoryBound: 0
; FloatMode: 240
; IeeeMode: 1
; LDSByteSize: 0 bytes/workgroup (compile time only)
; SGPRBlocks: 1
; VGPRBlocks: 1
; NumSGPRsForWavesPerEU: 14
; NumVGPRsForWavesPerEU: 16
; AccumOffset: 16
; Occupancy: 8
; WaveLimiterHint : 0
; COMPUTE_PGM_RSRC2:SCRATCH_EN: 0
; COMPUTE_PGM_RSRC2:USER_SGPR: 2
; COMPUTE_PGM_RSRC2:TRAP_HANDLER: 0
; COMPUTE_PGM_RSRC2:TGID_X_EN: 1
; COMPUTE_PGM_RSRC2:TGID_Y_EN: 0
; COMPUTE_PGM_RSRC2:TGID_Z_EN: 0
; COMPUTE_PGM_RSRC2:TIDIG_COMP_CNT: 0
; COMPUTE_PGM_RSRC3_GFX90A:ACCUM_OFFSET: 3
; COMPUTE_PGM_RSRC3_GFX90A:TG_SPLIT: 0
	.section	.text._ZL21dequantize_block_q3_KIfEvPKvPT_,"axG",@progbits,_ZL21dequantize_block_q3_KIfEvPKvPT_,comdat
	.globl	_ZL21dequantize_block_q3_KIfEvPKvPT_ ; -- Begin function _ZL21dequantize_block_q3_KIfEvPKvPT_
	.p2align	8
	.type	_ZL21dequantize_block_q3_KIfEvPKvPT_,@function
_ZL21dequantize_block_q3_KIfEvPKvPT_:   ; @_ZL21dequantize_block_q3_KIfEvPKvPT_
; %bb.0:
	v_lshrrev_b32_e32 v5, 5, v0
	v_lshrrev_b32_e32 v4, 3, v0
	v_lshlrev_b32_e32 v2, 2, v5
	v_sub_co_u32_e32 v6, vcc, v4, v2
	s_load_dwordx4 s[4:7], s[0:1], 0x0
	v_lshrrev_b32_e32 v1, 2, v0
	v_subb_co_u32_e64 v7, s[0:1], 0, 0, vcc
	v_mov_b32_e32 v11, 0
	v_and_b32_e32 v10, 0xf8, v1
	v_lshlrev_b64 v[2:3], 1, v[6:7]
	v_bfe_u32 v8, v0, 2, 1
	v_lshl_add_u64 v[12:13], v[2:3], 0, v[10:11]
	v_or_b32_e32 v10, v12, v8
	v_mov_b32_e32 v11, v13
	s_mov_b32 s3, 0
	v_cmp_lt_i64_e32 vcc, 3, v[10:11]
	s_mul_hi_u32 s12, s2, 0x6e
	s_mul_i32 s13, s2, 0x6e
                                        ; implicit-def: $vgpr3
                                        ; implicit-def: $vgpr14
	s_and_saveexec_b64 s[0:1], vcc
	s_xor_b64 s[0:1], exec, s[0:1]
	s_cbranch_execz .LBB23_10
; %bb.1:
	v_cmp_lt_u64_e32 vcc, 7, v[12:13]
                                        ; implicit-def: $vgpr3
                                        ; implicit-def: $vgpr14
	s_and_saveexec_b64 s[8:9], vcc
	s_xor_b64 s[8:9], exec, s[8:9]
	s_cbranch_execz .LBB23_7
; %bb.2:
	s_waitcnt lgkmcnt(0)
	s_add_u32 s10, s4, s13
	s_addc_u32 s11, s5, s12
	s_add_u32 s10, s10, 0x60
	s_addc_u32 s11, s11, 0
	v_lshl_add_u64 v[10:11], s[10:11], 0, v[10:11]
	global_load_ubyte v1, v[10:11], off offset:-8
	v_cmp_lt_u64_e32 vcc, 11, v[12:13]
                                        ; implicit-def: $vgpr14
	s_waitcnt vmcnt(0)
	v_lshrrev_b16_e32 v3, 4, v1
	s_and_saveexec_b64 s[10:11], vcc
	s_xor_b64 s[10:11], exec, s[10:11]
	s_cbranch_execz .LBB23_4
; %bb.3:
	global_load_ubyte v1, v[10:11], off offset:-4
                                        ; implicit-def: $vgpr10_vgpr11
	s_waitcnt vmcnt(0)
	v_lshrrev_b16_e32 v14, 2, v1
.LBB23_4:
	s_andn2_saveexec_b64 s[10:11], s[10:11]
	s_cbranch_execz .LBB23_6
; %bb.5:
	global_load_ubyte v14, v[10:11], off
.LBB23_6:
	s_or_b64 exec, exec, s[10:11]
                                        ; implicit-def: $vgpr10_vgpr11
.LBB23_7:
	s_andn2_saveexec_b64 s[8:9], s[8:9]
	s_cbranch_execz .LBB23_9
; %bb.8:
	s_waitcnt lgkmcnt(0)
	s_add_u32 s10, s4, s13
	s_addc_u32 s11, s5, s12
	v_lshl_add_u64 v[10:11], s[10:11], 0, v[10:11]
	global_load_ubyte v1, v[10:11], off offset:96
	global_load_ubyte v9, v[10:11], off offset:100
	s_waitcnt vmcnt(1)
	v_and_b32_e32 v3, 15, v1
	s_waitcnt vmcnt(0)
	v_lshlrev_b16_e32 v14, 2, v9
.LBB23_9:
	s_or_b64 exec, exec, s[8:9]
                                        ; implicit-def: $vgpr10_vgpr11
.LBB23_10:
	s_andn2_saveexec_b64 s[0:1], s[0:1]
	s_cbranch_execz .LBB23_12
; %bb.11:
	s_waitcnt lgkmcnt(0)
	s_add_u32 s8, s4, s13
	s_addc_u32 s9, s5, s12
	v_lshl_add_u64 v[10:11], s[8:9], 0, v[10:11]
	global_load_ubyte v1, v[10:11], off offset:96
	global_load_ubyte v9, v[10:11], off offset:104
	s_waitcnt vmcnt(1)
	v_and_b32_e32 v3, 15, v1
	s_waitcnt vmcnt(0)
	v_lshlrev_b16_e32 v14, 4, v9
.LBB23_12:
	s_or_b64 exec, exec, s[0:1]
	v_lshlrev_b32_e32 v0, 2, v0
	v_and_b32_e32 v0, 12, v0
	v_mov_b32_e32 v1, 0
	s_waitcnt lgkmcnt(0)
	s_add_u32 s0, s4, s13
	v_lshl_or_b32 v0, v8, 4, v0
	s_addc_u32 s1, s5, s12
	v_lshlrev_b32_e32 v8, 5, v5
	v_mov_b32_e32 v9, v1
	v_lshl_add_u64 v[8:9], s[0:1], 0, v[8:9]
	v_lshl_add_u64 v[10:11], v[8:9], 0, v[0:1]
	global_load_ushort v15, v1, s[0:1] offset:108
	global_load_ubyte v16, v[10:11], off offset:32
	global_load_ubyte v17, v0, s[0:1]
	v_lshlrev_b32_e64 v10, v4, 1
	s_waitcnt vmcnt(3)
	v_and_b32_e32 v11, 48, v14
	v_mov_b32_e32 v12, 32
	v_or_b32_e32 v3, v11, v3
	v_sub_u32_sdwa v3, v3, v12 dst_sel:DWORD dst_unused:UNUSED_PAD src0_sel:BYTE_0 src1_sel:DWORD
	s_lshl_b64 s[2:3], s[2:3], 10
	v_cvt_f32_i32_e32 v3, v3
	s_add_u32 s2, s6, s2
	v_lshlrev_b32_e32 v4, 9, v5
	v_mov_b32_e32 v5, v1
	s_addc_u32 s3, s7, s3
	v_lshlrev_b64 v[6:7], 7, v[6:7]
	v_lshl_add_u64 v[4:5], s[2:3], 0, v[4:5]
	v_mov_b32_e32 v13, v1
	v_add_u32_e32 v11, 4, v0
	v_lshlrev_b32_e32 v12, 2, v0
	v_or_b32_e32 v14, 1, v0
	v_lshl_add_u64 v[4:5], v[4:5], 0, v[6:7]
	v_lshl_add_u64 v[4:5], v[4:5], 0, v[12:13]
	s_waitcnt vmcnt(2)
	v_cvt_f32_f16_e32 v15, v15
	s_waitcnt vmcnt(1)
	v_lshrrev_b32_e32 v16, v2, v16
	s_waitcnt vmcnt(0)
	v_and_b32_e32 v17, v10, v17
	v_cmp_eq_u32_e32 vcc, 0, v17
	v_mul_f32_e32 v3, v15, v3
	s_nop 0
	v_cndmask_b32_e64 v17, 0, -4, vcc
	v_and_or_b32 v16, v16, 3, v17
	v_cvt_f32_i32_e32 v16, v16
	v_cmp_gt_u32_e32 vcc, v11, v14
	v_mul_f32_e32 v6, v3, v16
	global_store_dword v[4:5], v6, off
	s_and_saveexec_b64 s[2:3], vcc
	s_cbranch_execz .LBB23_14
; %bb.13:
	v_lshl_add_u64 v[8:9], v[8:9], 0, 32
	global_load_ubyte v11, v0, s[0:1] offset:1
	v_lshl_add_u64 v[8:9], v[8:9], 0, v[0:1]
	v_lshl_add_u64 v[6:7], s[0:1], 0, v[0:1]
	global_load_ubyte v0, v[8:9], off offset:1
	global_load_ushort v12, v[8:9], off offset:2
	global_load_ushort v13, v[6:7], off offset:2
	s_waitcnt vmcnt(3)
	v_and_b32_e32 v6, v10, v11
	v_cmp_eq_u32_e32 vcc, 0, v6
	s_waitcnt vmcnt(2)
	v_lshrrev_b32_e32 v0, v2, v0
	s_waitcnt vmcnt(0)
	v_and_b32_e32 v8, v13, v10
	v_and_b32_sdwa v9, v10, v13 dst_sel:DWORD dst_unused:UNUSED_PAD src0_sel:DWORD src1_sel:BYTE_1
	v_cndmask_b32_e64 v6, 0, -4, vcc
	v_cmp_eq_u32_sdwa s[0:1], v8, v1 src0_sel:BYTE_0 src1_sel:DWORD
	v_cmp_eq_u32_e32 vcc, 0, v9
	v_lshrrev_b32_sdwa v7, v2, v12 dst_sel:DWORD dst_unused:UNUSED_PAD src0_sel:DWORD src1_sel:BYTE_0
	v_lshrrev_b32_sdwa v2, v2, v12 dst_sel:DWORD dst_unused:UNUSED_PAD src0_sel:DWORD src1_sel:BYTE_1
	v_and_or_b32 v0, v0, 3, v6
	v_cndmask_b32_e64 v1, 0, -4, s[0:1]
	v_cndmask_b32_e64 v6, 0, -4, vcc
	v_cvt_f32_i32_e32 v0, v0
	v_and_or_b32 v1, v7, 3, v1
	v_and_or_b32 v2, v2, 3, v6
	v_cvt_f32_i32_e32 v1, v1
	v_cvt_f32_i32_e32 v2, v2
	v_mul_f32_e32 v0, v3, v0
	global_store_dword v[4:5], v0, off offset:4
	v_mul_f32_e32 v0, v3, v1
	v_mul_f32_e32 v1, v3, v2
	global_store_dwordx2 v[4:5], v[0:1], off offset:8
.LBB23_14:
	s_endpgm
	.section	.rodata,"a",@progbits
	.p2align	6, 0x0
	.amdhsa_kernel _ZL21dequantize_block_q3_KIfEvPKvPT_
		.amdhsa_group_segment_fixed_size 0
		.amdhsa_private_segment_fixed_size 0
		.amdhsa_kernarg_size 16
		.amdhsa_user_sgpr_count 2
		.amdhsa_user_sgpr_dispatch_ptr 0
		.amdhsa_user_sgpr_queue_ptr 0
		.amdhsa_user_sgpr_kernarg_segment_ptr 1
		.amdhsa_user_sgpr_dispatch_id 0
		.amdhsa_user_sgpr_kernarg_preload_length 0
		.amdhsa_user_sgpr_kernarg_preload_offset 0
		.amdhsa_user_sgpr_private_segment_size 0
		.amdhsa_uses_dynamic_stack 0
		.amdhsa_enable_private_segment 0
		.amdhsa_system_sgpr_workgroup_id_x 1
		.amdhsa_system_sgpr_workgroup_id_y 0
		.amdhsa_system_sgpr_workgroup_id_z 0
		.amdhsa_system_sgpr_workgroup_info 0
		.amdhsa_system_vgpr_workitem_id 0
		.amdhsa_next_free_vgpr 18
		.amdhsa_next_free_sgpr 14
		.amdhsa_accum_offset 20
		.amdhsa_reserve_vcc 1
		.amdhsa_float_round_mode_32 0
		.amdhsa_float_round_mode_16_64 0
		.amdhsa_float_denorm_mode_32 3
		.amdhsa_float_denorm_mode_16_64 3
		.amdhsa_dx10_clamp 1
		.amdhsa_ieee_mode 1
		.amdhsa_fp16_overflow 0
		.amdhsa_tg_split 0
		.amdhsa_exception_fp_ieee_invalid_op 0
		.amdhsa_exception_fp_denorm_src 0
		.amdhsa_exception_fp_ieee_div_zero 0
		.amdhsa_exception_fp_ieee_overflow 0
		.amdhsa_exception_fp_ieee_underflow 0
		.amdhsa_exception_fp_ieee_inexact 0
		.amdhsa_exception_int_div_zero 0
	.end_amdhsa_kernel
	.section	.text._ZL21dequantize_block_q3_KIfEvPKvPT_,"axG",@progbits,_ZL21dequantize_block_q3_KIfEvPKvPT_,comdat
.Lfunc_end23:
	.size	_ZL21dequantize_block_q3_KIfEvPKvPT_, .Lfunc_end23-_ZL21dequantize_block_q3_KIfEvPKvPT_
                                        ; -- End function
	.section	.AMDGPU.csdata,"",@progbits
; Kernel info:
; codeLenInByte = 836
; NumSgprs: 20
; NumVgprs: 18
; NumAgprs: 0
; TotalNumVgprs: 18
; ScratchSize: 0
; MemoryBound: 0
; FloatMode: 240
; IeeeMode: 1
; LDSByteSize: 0 bytes/workgroup (compile time only)
; SGPRBlocks: 2
; VGPRBlocks: 2
; NumSGPRsForWavesPerEU: 20
; NumVGPRsForWavesPerEU: 18
; AccumOffset: 20
; Occupancy: 8
; WaveLimiterHint : 0
; COMPUTE_PGM_RSRC2:SCRATCH_EN: 0
; COMPUTE_PGM_RSRC2:USER_SGPR: 2
; COMPUTE_PGM_RSRC2:TRAP_HANDLER: 0
; COMPUTE_PGM_RSRC2:TGID_X_EN: 1
; COMPUTE_PGM_RSRC2:TGID_Y_EN: 0
; COMPUTE_PGM_RSRC2:TGID_Z_EN: 0
; COMPUTE_PGM_RSRC2:TIDIG_COMP_CNT: 0
; COMPUTE_PGM_RSRC3_GFX90A:ACCUM_OFFSET: 4
; COMPUTE_PGM_RSRC3_GFX90A:TG_SPLIT: 0
	.section	.text._ZL21dequantize_block_q4_KIfEvPKvPT_,"axG",@progbits,_ZL21dequantize_block_q4_KIfEvPKvPT_,comdat
	.globl	_ZL21dequantize_block_q4_KIfEvPKvPT_ ; -- Begin function _ZL21dequantize_block_q4_KIfEvPKvPT_
	.p2align	8
	.type	_ZL21dequantize_block_q4_KIfEvPKvPT_,@function
_ZL21dequantize_block_q4_KIfEvPKvPT_:   ; @_ZL21dequantize_block_q4_KIfEvPKvPT_
; %bb.0:
	s_load_dwordx2 s[4:5], s[0:1], 0x0
	s_mul_i32 s6, s2, 0x90
	v_lshrrev_b32_e32 v1, 3, v0
	s_mul_hi_u32 s7, s2, 0x90
	v_mov_b32_e32 v5, 0
	s_waitcnt lgkmcnt(0)
	s_add_u32 s6, s4, s6
	v_lshlrev_b32_e32 v4, 1, v1
	s_addc_u32 s7, s5, s7
	s_mov_b32 s3, 0
	v_cmp_lt_u32_e32 vcc, 15, v0
	v_lshl_add_u64 v[2:3], s[6:7], 0, v[4:5]
                                        ; implicit-def: $vgpr7
                                        ; implicit-def: $vgpr6
	s_and_saveexec_b64 s[4:5], vcc
	s_xor_b64 s[4:5], exec, s[4:5]
	s_cbranch_execz .LBB24_2
; %bb.1:
	global_load_ubyte v6, v[2:3], off offset:8
	global_load_ubyte v7, v[2:3], off
	global_load_ubyte v8, v[2:3], off offset:4
	s_waitcnt vmcnt(2)
	v_and_b32_e32 v9, 15, v6
	s_waitcnt vmcnt(1)
	v_lshrrev_b16_e32 v7, 2, v7
	v_lshrrev_b16_e32 v10, 4, v6
	s_waitcnt vmcnt(0)
	v_lshrrev_b16_e32 v6, 2, v8
	v_and_b32_e32 v7, 48, v7
	v_and_b32_e32 v8, 48, v6
	v_or_b32_e32 v6, v7, v9
	v_or_b32_e32 v7, v8, v10
.LBB24_2:
	s_andn2_saveexec_b64 s[4:5], s[4:5]
	s_cbranch_execz .LBB24_4
; %bb.3:
	global_load_ubyte v6, v[2:3], off offset:4
	global_load_ubyte v7, v[2:3], off offset:8
	s_waitcnt vmcnt(1)
	v_and_b32_e32 v6, 63, v6
	s_waitcnt vmcnt(0)
	v_and_b32_e32 v7, 63, v7
.LBB24_4:
	s_or_b64 exec, exec, s[4:5]
	s_load_dwordx2 s[4:5], s[0:1], 0x8
	s_load_dword s8, s[6:7], 0x0
	s_add_u32 s0, s6, 4
	s_addc_u32 s1, s7, 0
	v_lshl_add_u64 v[4:5], s[0:1], 0, v[4:5]
                                        ; implicit-def: $vgpr9
                                        ; implicit-def: $vgpr8
	s_and_saveexec_b64 s[0:1], vcc
	s_xor_b64 s[0:1], exec, s[0:1]
	s_cbranch_execz .LBB24_6
; %bb.5:
	global_load_ubyte v8, v[4:5], off offset:5
	global_load_ubyte v9, v[4:5], off offset:-3
	global_load_ubyte v10, v[4:5], off offset:1
	s_waitcnt vmcnt(2)
	v_and_b32_e32 v4, 15, v8
	s_waitcnt vmcnt(1)
	v_lshrrev_b16_e32 v5, 2, v9
	v_lshrrev_b16_e32 v9, 4, v8
	s_waitcnt vmcnt(0)
	v_lshrrev_b16_e32 v8, 2, v10
	v_and_b32_e32 v5, 48, v5
	v_and_b32_e32 v10, 48, v8
	v_or_b32_e32 v8, v5, v4
	v_or_b32_e32 v9, v10, v9
                                        ; implicit-def: $vgpr4_vgpr5
.LBB24_6:
	s_andn2_saveexec_b64 s[0:1], s[0:1]
	s_cbranch_execz .LBB24_8
; %bb.7:
	global_load_ubyte v8, v[4:5], off offset:1
	global_load_ubyte v9, v[4:5], off offset:5
	s_waitcnt vmcnt(1)
	v_and_b32_e32 v8, 63, v8
	s_waitcnt vmcnt(0)
	v_and_b32_e32 v9, 63, v9
.LBB24_8:
	s_or_b64 exec, exec, s[0:1]
	v_lshlrev_b32_e32 v0, 2, v0
	v_mad_u64_u32 v[2:3], s[0:1], v1, 30, v[2:3]
	v_and_b32_e32 v4, 28, v0
	v_mov_b32_e32 v5, 0
	v_lshl_add_u64 v[2:3], v[2:3], 0, v[4:5]
	global_load_dword v2, v[2:3], off offset:16
	s_waitcnt lgkmcnt(0)
	s_lshr_b32 s6, s8, 16
	s_lshl_b64 s[0:1], s[2:3], 10
	v_cvt_f32_ubyte0_e32 v3, v7
	v_cvt_f32_f16_e32 v7, s8
	v_cvt_f32_f16_e32 v13, s6
	s_add_u32 s0, s4, s0
	v_lshlrev_b32_e32 v0, 8, v1
	v_mov_b32_e32 v1, v5
	s_addc_u32 s1, s5, s1
	v_lshlrev_b32_e32 v4, 2, v4
	v_lshl_add_u64 v[0:1], s[0:1], 0, v[0:1]
	v_cvt_f32_ubyte0_e32 v6, v6
	v_cvt_f32_ubyte0_e32 v10, v8
	;; [unrolled: 1-line block ×3, first 2 shown]
	v_mov_b32_e32 v12, 4
	v_lshl_add_u64 v[8:9], v[0:1], 0, v[4:5]
	v_mul_f32_e32 v14, v7, v6
	v_mul_f32_e32 v7, v7, v10
	;; [unrolled: 1-line block ×4, first 2 shown]
	s_waitcnt vmcnt(0)
	v_lshrrev_b32_e32 v0, 8, v2
	v_and_b32_e32 v1, 15, v2
	v_bfe_u32 v5, v2, 8, 4
	v_lshrrev_b16_e32 v4, 4, v2
	v_bfe_u32 v6, v2, 16, 4
	v_bfe_u32 v11, v2, 20, 4
	;; [unrolled: 1-line block ×3, first 2 shown]
	v_lshrrev_b16_sdwa v2, v12, v2 dst_sel:DWORD dst_unused:UNUSED_PAD src0_sel:DWORD src1_sel:BYTE_3
	v_cvt_f32_ubyte0_e32 v1, v1
	v_cvt_f32_ubyte0_e32 v5, v5
	v_lshrrev_b16_e32 v12, 4, v0
	v_and_b32_e32 v4, 15, v4
	v_fma_f32 v0, v14, v1, -v3
	v_fma_f32 v1, v14, v5, -v3
	v_and_b32_e32 v5, 15, v12
	v_cvt_f32_ubyte0_e32 v6, v6
	v_cvt_f32_ubyte0_e32 v11, v11
	;; [unrolled: 1-line block ×6, first 2 shown]
	v_fma_f32 v2, v14, v6, -v3
	v_fma_f32 v6, v7, v11, -v10
	;; [unrolled: 1-line block ×6, first 2 shown]
	global_store_dwordx4 v[8:9], v[0:3], off
	global_store_dwordx4 v[8:9], v[4:7], off offset:128
	s_endpgm
	.section	.rodata,"a",@progbits
	.p2align	6, 0x0
	.amdhsa_kernel _ZL21dequantize_block_q4_KIfEvPKvPT_
		.amdhsa_group_segment_fixed_size 0
		.amdhsa_private_segment_fixed_size 0
		.amdhsa_kernarg_size 16
		.amdhsa_user_sgpr_count 2
		.amdhsa_user_sgpr_dispatch_ptr 0
		.amdhsa_user_sgpr_queue_ptr 0
		.amdhsa_user_sgpr_kernarg_segment_ptr 1
		.amdhsa_user_sgpr_dispatch_id 0
		.amdhsa_user_sgpr_kernarg_preload_length 0
		.amdhsa_user_sgpr_kernarg_preload_offset 0
		.amdhsa_user_sgpr_private_segment_size 0
		.amdhsa_uses_dynamic_stack 0
		.amdhsa_enable_private_segment 0
		.amdhsa_system_sgpr_workgroup_id_x 1
		.amdhsa_system_sgpr_workgroup_id_y 0
		.amdhsa_system_sgpr_workgroup_id_z 0
		.amdhsa_system_sgpr_workgroup_info 0
		.amdhsa_system_vgpr_workitem_id 0
		.amdhsa_next_free_vgpr 16
		.amdhsa_next_free_sgpr 9
		.amdhsa_accum_offset 16
		.amdhsa_reserve_vcc 1
		.amdhsa_float_round_mode_32 0
		.amdhsa_float_round_mode_16_64 0
		.amdhsa_float_denorm_mode_32 3
		.amdhsa_float_denorm_mode_16_64 3
		.amdhsa_dx10_clamp 1
		.amdhsa_ieee_mode 1
		.amdhsa_fp16_overflow 0
		.amdhsa_tg_split 0
		.amdhsa_exception_fp_ieee_invalid_op 0
		.amdhsa_exception_fp_denorm_src 0
		.amdhsa_exception_fp_ieee_div_zero 0
		.amdhsa_exception_fp_ieee_overflow 0
		.amdhsa_exception_fp_ieee_underflow 0
		.amdhsa_exception_fp_ieee_inexact 0
		.amdhsa_exception_int_div_zero 0
	.end_amdhsa_kernel
	.section	.text._ZL21dequantize_block_q4_KIfEvPKvPT_,"axG",@progbits,_ZL21dequantize_block_q4_KIfEvPKvPT_,comdat
.Lfunc_end24:
	.size	_ZL21dequantize_block_q4_KIfEvPKvPT_, .Lfunc_end24-_ZL21dequantize_block_q4_KIfEvPKvPT_
                                        ; -- End function
	.section	.AMDGPU.csdata,"",@progbits
; Kernel info:
; codeLenInByte = 656
; NumSgprs: 15
; NumVgprs: 16
; NumAgprs: 0
; TotalNumVgprs: 16
; ScratchSize: 0
; MemoryBound: 0
; FloatMode: 240
; IeeeMode: 1
; LDSByteSize: 0 bytes/workgroup (compile time only)
; SGPRBlocks: 1
; VGPRBlocks: 1
; NumSGPRsForWavesPerEU: 15
; NumVGPRsForWavesPerEU: 16
; AccumOffset: 16
; Occupancy: 8
; WaveLimiterHint : 1
; COMPUTE_PGM_RSRC2:SCRATCH_EN: 0
; COMPUTE_PGM_RSRC2:USER_SGPR: 2
; COMPUTE_PGM_RSRC2:TRAP_HANDLER: 0
; COMPUTE_PGM_RSRC2:TGID_X_EN: 1
; COMPUTE_PGM_RSRC2:TGID_Y_EN: 0
; COMPUTE_PGM_RSRC2:TGID_Z_EN: 0
; COMPUTE_PGM_RSRC2:TIDIG_COMP_CNT: 0
; COMPUTE_PGM_RSRC3_GFX90A:ACCUM_OFFSET: 3
; COMPUTE_PGM_RSRC3_GFX90A:TG_SPLIT: 0
	.section	.text._ZL21dequantize_block_q5_KIfEvPKvPT_,"axG",@progbits,_ZL21dequantize_block_q5_KIfEvPKvPT_,comdat
	.globl	_ZL21dequantize_block_q5_KIfEvPKvPT_ ; -- Begin function _ZL21dequantize_block_q5_KIfEvPKvPT_
	.p2align	8
	.type	_ZL21dequantize_block_q5_KIfEvPKvPT_,@function
_ZL21dequantize_block_q5_KIfEvPKvPT_:   ; @_ZL21dequantize_block_q5_KIfEvPKvPT_
; %bb.0:
	s_load_dwordx2 s[4:5], s[0:1], 0x0
	s_mul_i32 s7, s2, 0xb0
	v_lshrrev_b32_e32 v1, 4, v0
	s_mul_hi_u32 s6, s2, 0xb0
	v_mov_b32_e32 v3, 0
	s_waitcnt lgkmcnt(0)
	s_add_u32 s4, s4, s7
	v_lshlrev_b32_e32 v2, 1, v1
	s_addc_u32 s5, s5, s6
	s_mov_b32 s3, 0
	v_cmp_lt_u32_e32 vcc, 31, v0
	v_lshl_add_u64 v[4:5], s[4:5], 0, v[2:3]
                                        ; implicit-def: $vgpr9
                                        ; implicit-def: $vgpr8
	s_and_saveexec_b64 s[6:7], vcc
	s_xor_b64 s[6:7], exec, s[6:7]
	s_cbranch_execz .LBB25_2
; %bb.1:
	global_load_ubyte v6, v[4:5], off offset:8
	global_load_ubyte v7, v[4:5], off
	global_load_ubyte v8, v[4:5], off offset:4
	s_waitcnt vmcnt(2)
	v_and_b32_e32 v9, 15, v6
	s_waitcnt vmcnt(1)
	v_lshrrev_b16_e32 v7, 2, v7
	s_waitcnt vmcnt(0)
	v_lshrrev_b16_e32 v8, 2, v8
	v_lshrrev_b16_e32 v6, 4, v6
	v_and_b32_e32 v7, 48, v7
	v_and_b32_e32 v10, 48, v8
	v_or_b32_e32 v8, v7, v9
	v_or_b32_e32 v9, v10, v6
.LBB25_2:
	s_andn2_saveexec_b64 s[6:7], s[6:7]
	s_cbranch_execz .LBB25_4
; %bb.3:
	global_load_ubyte v6, v[4:5], off offset:4
	global_load_ubyte v7, v[4:5], off offset:8
	s_waitcnt vmcnt(1)
	v_and_b32_e32 v8, 63, v6
	s_waitcnt vmcnt(0)
	v_and_b32_e32 v9, 63, v7
.LBB25_4:
	s_or_b64 exec, exec, s[6:7]
	s_load_dwordx2 s[6:7], s[0:1], 0x8
	s_load_dword s8, s[4:5], 0x0
	s_add_u32 s0, s4, 4
	s_addc_u32 s1, s5, 0
	v_lshl_add_u64 v[6:7], s[0:1], 0, v[2:3]
                                        ; implicit-def: $vgpr10
                                        ; implicit-def: $vgpr3
	s_and_saveexec_b64 s[0:1], vcc
	s_xor_b64 s[0:1], exec, s[0:1]
	s_cbranch_execz .LBB25_6
; %bb.5:
	global_load_ubyte v3, v[6:7], off offset:5
	global_load_ubyte v10, v[6:7], off offset:-3
	global_load_ubyte v11, v[6:7], off offset:1
	s_waitcnt vmcnt(2)
	v_and_b32_e32 v6, 15, v3
	s_waitcnt vmcnt(1)
	v_lshrrev_b16_e32 v7, 2, v10
	v_lshrrev_b16_e32 v10, 4, v3
	s_waitcnt vmcnt(0)
	v_lshrrev_b16_e32 v3, 2, v11
	v_and_b32_e32 v7, 48, v7
	v_and_b32_e32 v11, 48, v3
	v_or_b32_e32 v3, v7, v6
	v_or_b32_e32 v10, v11, v10
                                        ; implicit-def: $vgpr6_vgpr7
.LBB25_6:
	s_andn2_saveexec_b64 s[0:1], s[0:1]
	s_cbranch_execz .LBB25_8
; %bb.7:
	global_load_ubyte v3, v[6:7], off offset:1
	global_load_ubyte v10, v[6:7], off offset:5
	s_waitcnt vmcnt(1)
	v_and_b32_e32 v3, 63, v3
	s_waitcnt vmcnt(0)
	v_and_b32_e32 v10, 63, v10
.LBB25_8:
	s_or_b64 exec, exec, s[0:1]
	v_lshlrev_b32_e32 v0, 1, v0
	v_and_b32_e32 v6, 30, v0
	v_mov_b32_e32 v7, 0
	v_mad_u64_u32 v[4:5], s[0:1], v1, 30, v[4:5]
	v_lshl_add_u64 v[4:5], v[4:5], 0, v[6:7]
	global_load_ushort v11, v[4:5], off offset:48
	global_load_ushort v12, v6, s[4:5] offset:16
	s_waitcnt lgkmcnt(0)
	s_lshr_b32 s4, s8, 16
	s_lshl_b64 s[0:1], s[2:3], 10
	s_add_u32 s0, s6, s0
	v_cvt_f32_f16_e32 v5, s8
	v_lshlrev_b32_e32 v0, 8, v1
	v_cvt_f32_f16_e32 v14, s4
	v_mov_b32_e32 v1, v7
	s_addc_u32 s1, s7, s1
	v_cvt_f32_ubyte0_e32 v4, v9
	v_cvt_f32_ubyte0_e32 v9, v10
	v_lshlrev_b32_e64 v10, v2, 1
	v_lshlrev_b32_e32 v6, 2, v6
	v_lshl_add_u64 v[0:1], s[0:1], 0, v[0:1]
	v_lshl_add_u64 v[0:1], v[0:1], 0, v[6:7]
	v_cvt_f32_ubyte0_e32 v8, v8
	v_cvt_f32_ubyte0_e32 v3, v3
	v_lshlrev_b32_e64 v2, v2, 2
	v_mov_b32_e32 v13, 15
	v_mul_f32_e32 v8, v5, v8
	v_mul_f32_e32 v5, v5, v3
	;; [unrolled: 1-line block ×4, first 2 shown]
	s_waitcnt vmcnt(1)
	v_and_b32_sdwa v9, v11, v13 dst_sel:DWORD dst_unused:UNUSED_PAD src0_sel:BYTE_1 src1_sel:DWORD
	s_waitcnt vmcnt(0)
	v_and_b32_sdwa v7, v10, v12 dst_sel:DWORD dst_unused:UNUSED_PAD src0_sel:DWORD src1_sel:BYTE_0
	v_and_b32_sdwa v10, v10, v12 dst_sel:DWORD dst_unused:UNUSED_PAD src0_sel:DWORD src1_sel:BYTE_1
	v_cmp_ne_u32_e32 vcc, 0, v7
	v_and_b32_sdwa v14, v2, v12 dst_sel:DWORD dst_unused:UNUSED_PAD src0_sel:DWORD src1_sel:BYTE_0
	v_lshrrev_b16_e32 v13, 4, v11
	v_cndmask_b32_e64 v7, 0, 1, vcc
	v_cmp_ne_u32_e32 vcc, 0, v10
	v_and_b32_sdwa v2, v2, v12 dst_sel:DWORD dst_unused:UNUSED_PAD src0_sel:DWORD src1_sel:BYTE_1
	v_and_b32_e32 v4, 15, v11
	v_cndmask_b32_e64 v10, 0, 1, vcc
	v_cmp_ne_u32_e32 vcc, 0, v14
	v_and_b32_e32 v12, 15, v13
	v_lshrrev_b16_e32 v11, 12, v11
	v_cndmask_b32_e64 v13, 0, 1, vcc
	v_cmp_ne_u32_e32 vcc, 0, v2
	v_lshl_or_b32 v4, v7, 4, v4
	v_lshl_or_b32 v7, v10, 4, v9
	v_cndmask_b32_e64 v2, 0, 1, vcc
	v_lshl_or_b32 v9, v13, 4, v12
	v_lshl_or_b32 v2, v2, 4, v11
	v_cvt_f32_ubyte0_e32 v4, v4
	v_cvt_f32_ubyte0_e32 v7, v7
	;; [unrolled: 1-line block ×4, first 2 shown]
	v_fma_f32 v2, v8, v4, -v3
	v_fma_f32 v3, v8, v7, -v3
	;; [unrolled: 1-line block ×4, first 2 shown]
	global_store_dwordx2 v[0:1], v[2:3], off
	global_store_dwordx2 v[0:1], v[4:5], off offset:128
	s_endpgm
	.section	.rodata,"a",@progbits
	.p2align	6, 0x0
	.amdhsa_kernel _ZL21dequantize_block_q5_KIfEvPKvPT_
		.amdhsa_group_segment_fixed_size 0
		.amdhsa_private_segment_fixed_size 0
		.amdhsa_kernarg_size 16
		.amdhsa_user_sgpr_count 2
		.amdhsa_user_sgpr_dispatch_ptr 0
		.amdhsa_user_sgpr_queue_ptr 0
		.amdhsa_user_sgpr_kernarg_segment_ptr 1
		.amdhsa_user_sgpr_dispatch_id 0
		.amdhsa_user_sgpr_kernarg_preload_length 0
		.amdhsa_user_sgpr_kernarg_preload_offset 0
		.amdhsa_user_sgpr_private_segment_size 0
		.amdhsa_uses_dynamic_stack 0
		.amdhsa_enable_private_segment 0
		.amdhsa_system_sgpr_workgroup_id_x 1
		.amdhsa_system_sgpr_workgroup_id_y 0
		.amdhsa_system_sgpr_workgroup_id_z 0
		.amdhsa_system_sgpr_workgroup_info 0
		.amdhsa_system_vgpr_workitem_id 0
		.amdhsa_next_free_vgpr 15
		.amdhsa_next_free_sgpr 9
		.amdhsa_accum_offset 16
		.amdhsa_reserve_vcc 1
		.amdhsa_float_round_mode_32 0
		.amdhsa_float_round_mode_16_64 0
		.amdhsa_float_denorm_mode_32 3
		.amdhsa_float_denorm_mode_16_64 3
		.amdhsa_dx10_clamp 1
		.amdhsa_ieee_mode 1
		.amdhsa_fp16_overflow 0
		.amdhsa_tg_split 0
		.amdhsa_exception_fp_ieee_invalid_op 0
		.amdhsa_exception_fp_denorm_src 0
		.amdhsa_exception_fp_ieee_div_zero 0
		.amdhsa_exception_fp_ieee_overflow 0
		.amdhsa_exception_fp_ieee_underflow 0
		.amdhsa_exception_fp_ieee_inexact 0
		.amdhsa_exception_int_div_zero 0
	.end_amdhsa_kernel
	.section	.text._ZL21dequantize_block_q5_KIfEvPKvPT_,"axG",@progbits,_ZL21dequantize_block_q5_KIfEvPKvPT_,comdat
.Lfunc_end25:
	.size	_ZL21dequantize_block_q5_KIfEvPKvPT_, .Lfunc_end25-_ZL21dequantize_block_q5_KIfEvPKvPT_
                                        ; -- End function
	.section	.AMDGPU.csdata,"",@progbits
; Kernel info:
; codeLenInByte = 708
; NumSgprs: 15
; NumVgprs: 15
; NumAgprs: 0
; TotalNumVgprs: 15
; ScratchSize: 0
; MemoryBound: 0
; FloatMode: 240
; IeeeMode: 1
; LDSByteSize: 0 bytes/workgroup (compile time only)
; SGPRBlocks: 1
; VGPRBlocks: 1
; NumSGPRsForWavesPerEU: 15
; NumVGPRsForWavesPerEU: 15
; AccumOffset: 16
; Occupancy: 8
; WaveLimiterHint : 1
; COMPUTE_PGM_RSRC2:SCRATCH_EN: 0
; COMPUTE_PGM_RSRC2:USER_SGPR: 2
; COMPUTE_PGM_RSRC2:TRAP_HANDLER: 0
; COMPUTE_PGM_RSRC2:TGID_X_EN: 1
; COMPUTE_PGM_RSRC2:TGID_Y_EN: 0
; COMPUTE_PGM_RSRC2:TGID_Z_EN: 0
; COMPUTE_PGM_RSRC2:TIDIG_COMP_CNT: 0
; COMPUTE_PGM_RSRC3_GFX90A:ACCUM_OFFSET: 3
; COMPUTE_PGM_RSRC3_GFX90A:TG_SPLIT: 0
	.section	.text._ZL21dequantize_block_q6_KIfEvPKvPT_,"axG",@progbits,_ZL21dequantize_block_q6_KIfEvPKvPT_,comdat
	.globl	_ZL21dequantize_block_q6_KIfEvPKvPT_ ; -- Begin function _ZL21dequantize_block_q6_KIfEvPKvPT_
	.p2align	8
	.type	_ZL21dequantize_block_q6_KIfEvPKvPT_,@function
_ZL21dequantize_block_q6_KIfEvPKvPT_:   ; @_ZL21dequantize_block_q6_KIfEvPKvPT_
; %bb.0:
	s_load_dwordx4 s[4:7], s[0:1], 0x0
	s_mov_b32 s3, 0
	s_lshl_b64 s[0:1], s[2:3], 10
	s_mul_hi_u32 s3, s2, 0xd2
	s_mulk_i32 s2, 0xd2
	s_waitcnt lgkmcnt(0)
	s_add_u32 s0, s6, s0
	s_addc_u32 s1, s7, s1
	v_lshrrev_b32_e32 v4, 5, v0
	v_mov_b32_e32 v1, 0
	v_bfe_u32 v2, v0, 4, 1
	s_add_u32 s2, s4, s2
	v_lshl_or_b32 v5, v4, 3, v2
	s_addc_u32 s3, s5, s3
	v_lshlrev_b32_e32 v2, 6, v4
	v_mov_b32_e32 v3, v1
	global_load_ushort v6, v1, s[2:3] offset:208
	global_load_sbyte v7, v5, s[2:3] offset:192
	global_load_ubyte v8, v0, s[2:3] offset:128
	global_load_sbyte v9, v5, s[2:3] offset:194
	global_load_sbyte v10, v5, s[2:3] offset:196
	v_and_b32_e32 v0, 31, v0
	v_lshl_add_u64 v[2:3], s[2:3], 0, v[2:3]
	v_lshl_add_u64 v[2:3], v[2:3], 0, v[0:1]
	global_load_ubyte v11, v[2:3], off
	global_load_ubyte v12, v[2:3], off offset:32
	global_load_sbyte v13, v5, s[2:3] offset:198
	v_mov_b32_e32 v3, v1
	v_lshlrev_b32_e32 v2, 9, v4
	v_lshlrev_b32_e32 v0, 2, v0
	v_lshl_add_u64 v[2:3], s[0:1], 0, v[2:3]
	v_lshl_add_u64 v[0:1], v[2:3], 0, v[0:1]
	v_mov_b32_e32 v5, 32
	s_waitcnt vmcnt(7)
	v_cvt_f32_f16_e32 v2, v6
	s_waitcnt vmcnt(6)
	v_cvt_f32_i32_e32 v3, v7
	s_waitcnt vmcnt(5)
	v_lshlrev_b16_e32 v4, 4, v8
	s_waitcnt vmcnt(4)
	v_cvt_f32_i32_e32 v6, v9
	v_lshlrev_b16_e32 v7, 2, v8
	s_waitcnt vmcnt(3)
	v_cvt_f32_i32_e32 v9, v10
	v_and_b32_e32 v10, 48, v8
	v_lshrrev_b16_e32 v8, 2, v8
	v_and_b32_e32 v4, 48, v4
	s_waitcnt vmcnt(2)
	v_and_b32_e32 v14, 15, v11
	v_and_b32_e32 v7, 48, v7
	;; [unrolled: 1-line block ×3, first 2 shown]
	s_waitcnt vmcnt(1)
	v_and_b32_e32 v15, 15, v12
	v_lshrrev_b16_e32 v11, 4, v11
	v_lshrrev_b16_e32 v12, 4, v12
	v_or_b32_e32 v4, v14, v4
	v_or_b32_e32 v7, v15, v7
	;; [unrolled: 1-line block ×4, first 2 shown]
	v_sub_u32_sdwa v4, v4, v5 dst_sel:DWORD dst_unused:UNUSED_PAD src0_sel:WORD_0 src1_sel:DWORD
	s_waitcnt vmcnt(0)
	v_cvt_f32_i32_e32 v13, v13
	v_sub_u32_sdwa v7, v7, v5 dst_sel:DWORD dst_unused:UNUSED_PAD src0_sel:WORD_0 src1_sel:DWORD
	v_sub_u32_sdwa v10, v10, v5 dst_sel:DWORD dst_unused:UNUSED_PAD src0_sel:WORD_0 src1_sel:DWORD
	;; [unrolled: 1-line block ×3, first 2 shown]
	v_cvt_f32_i32_e32 v4, v4
	v_cvt_f32_i32_e32 v7, v7
	;; [unrolled: 1-line block ×4, first 2 shown]
	v_mul_f32_e32 v3, v2, v3
	v_mul_f32_e32 v6, v2, v6
	v_mul_f32_e32 v9, v2, v9
	v_mul_f32_e32 v2, v2, v13
	v_mul_f32_e32 v3, v3, v4
	v_mul_f32_e32 v4, v6, v7
	v_mul_f32_e32 v6, v9, v8
	v_mul_f32_e32 v2, v2, v5
	global_store_dword v[0:1], v3, off
	global_store_dword v[0:1], v4, off offset:128
	global_store_dword v[0:1], v6, off offset:256
	;; [unrolled: 1-line block ×3, first 2 shown]
	s_endpgm
	.section	.rodata,"a",@progbits
	.p2align	6, 0x0
	.amdhsa_kernel _ZL21dequantize_block_q6_KIfEvPKvPT_
		.amdhsa_group_segment_fixed_size 0
		.amdhsa_private_segment_fixed_size 0
		.amdhsa_kernarg_size 16
		.amdhsa_user_sgpr_count 2
		.amdhsa_user_sgpr_dispatch_ptr 0
		.amdhsa_user_sgpr_queue_ptr 0
		.amdhsa_user_sgpr_kernarg_segment_ptr 1
		.amdhsa_user_sgpr_dispatch_id 0
		.amdhsa_user_sgpr_kernarg_preload_length 0
		.amdhsa_user_sgpr_kernarg_preload_offset 0
		.amdhsa_user_sgpr_private_segment_size 0
		.amdhsa_uses_dynamic_stack 0
		.amdhsa_enable_private_segment 0
		.amdhsa_system_sgpr_workgroup_id_x 1
		.amdhsa_system_sgpr_workgroup_id_y 0
		.amdhsa_system_sgpr_workgroup_id_z 0
		.amdhsa_system_sgpr_workgroup_info 0
		.amdhsa_system_vgpr_workitem_id 0
		.amdhsa_next_free_vgpr 16
		.amdhsa_next_free_sgpr 8
		.amdhsa_accum_offset 16
		.amdhsa_reserve_vcc 0
		.amdhsa_float_round_mode_32 0
		.amdhsa_float_round_mode_16_64 0
		.amdhsa_float_denorm_mode_32 3
		.amdhsa_float_denorm_mode_16_64 3
		.amdhsa_dx10_clamp 1
		.amdhsa_ieee_mode 1
		.amdhsa_fp16_overflow 0
		.amdhsa_tg_split 0
		.amdhsa_exception_fp_ieee_invalid_op 0
		.amdhsa_exception_fp_denorm_src 0
		.amdhsa_exception_fp_ieee_div_zero 0
		.amdhsa_exception_fp_ieee_overflow 0
		.amdhsa_exception_fp_ieee_underflow 0
		.amdhsa_exception_fp_ieee_inexact 0
		.amdhsa_exception_int_div_zero 0
	.end_amdhsa_kernel
	.section	.text._ZL21dequantize_block_q6_KIfEvPKvPT_,"axG",@progbits,_ZL21dequantize_block_q6_KIfEvPKvPT_,comdat
.Lfunc_end26:
	.size	_ZL21dequantize_block_q6_KIfEvPKvPT_, .Lfunc_end26-_ZL21dequantize_block_q6_KIfEvPKvPT_
                                        ; -- End function
	.section	.AMDGPU.csdata,"",@progbits
; Kernel info:
; codeLenInByte = 424
; NumSgprs: 14
; NumVgprs: 16
; NumAgprs: 0
; TotalNumVgprs: 16
; ScratchSize: 0
; MemoryBound: 0
; FloatMode: 240
; IeeeMode: 1
; LDSByteSize: 0 bytes/workgroup (compile time only)
; SGPRBlocks: 1
; VGPRBlocks: 1
; NumSGPRsForWavesPerEU: 14
; NumVGPRsForWavesPerEU: 16
; AccumOffset: 16
; Occupancy: 8
; WaveLimiterHint : 0
; COMPUTE_PGM_RSRC2:SCRATCH_EN: 0
; COMPUTE_PGM_RSRC2:USER_SGPR: 2
; COMPUTE_PGM_RSRC2:TRAP_HANDLER: 0
; COMPUTE_PGM_RSRC2:TGID_X_EN: 1
; COMPUTE_PGM_RSRC2:TGID_Y_EN: 0
; COMPUTE_PGM_RSRC2:TGID_Z_EN: 0
; COMPUTE_PGM_RSRC2:TIDIG_COMP_CNT: 0
; COMPUTE_PGM_RSRC3_GFX90A:ACCUM_OFFSET: 3
; COMPUTE_PGM_RSRC3_GFX90A:TG_SPLIT: 0
	.section	.text._ZL24dequantize_block_iq2_xxsIfEvPKvPT_,"axG",@progbits,_ZL24dequantize_block_iq2_xxsIfEvPKvPT_,comdat
	.globl	_ZL24dequantize_block_iq2_xxsIfEvPKvPT_ ; -- Begin function _ZL24dequantize_block_iq2_xxsIfEvPKvPT_
	.p2align	8
	.type	_ZL24dequantize_block_iq2_xxsIfEvPKvPT_,@function
_ZL24dequantize_block_iq2_xxsIfEvPKvPT_: ; @_ZL24dequantize_block_iq2_xxsIfEvPKvPT_
; %bb.0:
	s_load_dwordx4 s[4:7], s[0:1], 0x0
	s_mov_b32 s3, 0
	s_lshl_b64 s[0:1], s[2:3], 10
	s_mul_hi_u32 s3, s2, 0x42
	s_mulk_i32 s2, 0x42
	s_waitcnt lgkmcnt(0)
	s_add_u32 s0, s6, s0
	s_addc_u32 s1, s7, s1
	v_and_b32_e32 v6, 7, v0
	s_add_u32 s2, s4, s2
	v_mov_b32_e32 v5, 0
	s_addc_u32 s3, s5, s3
	v_lshlrev_b32_e32 v2, 3, v6
	v_mov_b32_e32 v3, v5
	global_load_dword v7, v2, s[2:3] offset:6
	v_lshrrev_b32_e32 v4, 3, v0
	v_lshl_add_u64 v[2:3], s[2:3], 0, v[2:3]
	v_lshl_add_u64 v[2:3], v[2:3], 0, v[4:5]
	global_load_ubyte v1, v[2:3], off offset:2
	global_load_ushort v10, v5, s[2:3]
	v_mul_u32_u24_e32 v2, 7, v4
	s_getpc_b64 s[2:3]
	s_add_u32 s2, s2, _ZL12ksigns_iq2xs@rel32@lo+4
	s_addc_u32 s3, s3, _ZL12ksigns_iq2xs@rel32@hi+12
	v_and_b32_e32 v4, 0x3f8, v0
	v_lshlrev_b32_e32 v0, 7, v6
	v_lshlrev_b32_e32 v4, 2, v4
	s_waitcnt vmcnt(2)
	v_bfe_u32 v11, v7, v2, 7
	global_load_sbyte v12, v11, s[2:3]
	s_getpc_b64 s[2:3]
	s_add_u32 s2, s2, _ZL11iq2xxs_grid@rel32@lo+4
	s_addc_u32 s3, s3, _ZL11iq2xxs_grid@rel32@hi+12
	s_waitcnt vmcnt(2)
	v_lshlrev_b32_e32 v1, 3, v1
	global_load_dwordx2 v[2:3], v1, s[2:3]
	v_mov_b32_e32 v1, v5
	v_lshl_add_u64 v[0:1], s[0:1], 0, v[0:1]
	v_lshl_add_u64 v[8:9], v[0:1], 0, v[4:5]
	s_waitcnt vmcnt(2)
	v_cvt_f32_f16_e32 v0, v10
	v_lshrrev_b32_e32 v1, 28, v7
	v_cvt_f32_ubyte0_e32 v1, v1
	v_add_f32_e32 v1, 0.5, v1
	v_mul_f32_e32 v0, v1, v0
	v_mul_f32_e32 v0, 0x3e800000, v0
	s_waitcnt vmcnt(1)
	v_and_b32_e32 v1, 1, v12
	v_and_b32_e32 v4, 2, v12
	v_cmp_eq_u16_e32 vcc, 0, v1
	s_waitcnt vmcnt(0)
	v_cvt_f32_ubyte0_e32 v13, v2
	v_cvt_f32_ubyte1_e32 v14, v2
	v_cvt_f32_ubyte2_e32 v15, v2
	v_cvt_f32_ubyte3_e32 v2, v2
	v_cvt_f32_ubyte0_e32 v16, v3
	v_cvt_f32_ubyte1_e32 v17, v3
	v_cvt_f32_ubyte2_e32 v18, v3
	v_cvt_f32_ubyte3_e32 v3, v3
	v_mul_f32_e32 v13, v0, v13
	v_and_b32_e32 v5, 4, v12
	v_mul_f32_e32 v14, v0, v14
	v_mul_f32_e32 v15, v0, v15
	;; [unrolled: 1-line block ×7, first 2 shown]
	v_cndmask_b32_e64 v0, -v13, v13, vcc
	v_cmp_eq_u16_e32 vcc, 0, v4
	v_and_b32_e32 v6, 8, v12
	v_and_b32_e32 v7, 16, v12
	v_cndmask_b32_e64 v1, -v14, v14, vcc
	v_cmp_eq_u16_e32 vcc, 0, v5
	v_and_b32_e32 v10, 32, v12
	s_nop 0
	v_cndmask_b32_e64 v2, -v15, v15, vcc
	v_cmp_eq_u16_e32 vcc, 0, v6
	s_nop 1
	v_cndmask_b32_e64 v3, -v19, v19, vcc
	v_cmp_eq_u16_e32 vcc, 0, v7
	;; [unrolled: 3-line block ×3, first 2 shown]
	s_nop 1
	v_cndmask_b32_e64 v5, -v17, v17, vcc
	v_cmp_gt_u32_e32 vcc, 64, v11
	s_nop 1
	v_cndmask_b32_e64 v6, -v18, v18, vcc
	v_cmp_gt_i16_e32 vcc, 0, v12
	s_nop 1
	v_cndmask_b32_e64 v7, v20, -v20, vcc
	global_store_dwordx4 v[8:9], v[0:3], off
	global_store_dwordx4 v[8:9], v[4:7], off offset:16
	s_endpgm
	.section	.rodata,"a",@progbits
	.p2align	6, 0x0
	.amdhsa_kernel _ZL24dequantize_block_iq2_xxsIfEvPKvPT_
		.amdhsa_group_segment_fixed_size 0
		.amdhsa_private_segment_fixed_size 0
		.amdhsa_kernarg_size 16
		.amdhsa_user_sgpr_count 2
		.amdhsa_user_sgpr_dispatch_ptr 0
		.amdhsa_user_sgpr_queue_ptr 0
		.amdhsa_user_sgpr_kernarg_segment_ptr 1
		.amdhsa_user_sgpr_dispatch_id 0
		.amdhsa_user_sgpr_kernarg_preload_length 0
		.amdhsa_user_sgpr_kernarg_preload_offset 0
		.amdhsa_user_sgpr_private_segment_size 0
		.amdhsa_uses_dynamic_stack 0
		.amdhsa_enable_private_segment 0
		.amdhsa_system_sgpr_workgroup_id_x 1
		.amdhsa_system_sgpr_workgroup_id_y 0
		.amdhsa_system_sgpr_workgroup_id_z 0
		.amdhsa_system_sgpr_workgroup_info 0
		.amdhsa_system_vgpr_workitem_id 0
		.amdhsa_next_free_vgpr 21
		.amdhsa_next_free_sgpr 8
		.amdhsa_accum_offset 24
		.amdhsa_reserve_vcc 1
		.amdhsa_float_round_mode_32 0
		.amdhsa_float_round_mode_16_64 0
		.amdhsa_float_denorm_mode_32 3
		.amdhsa_float_denorm_mode_16_64 3
		.amdhsa_dx10_clamp 1
		.amdhsa_ieee_mode 1
		.amdhsa_fp16_overflow 0
		.amdhsa_tg_split 0
		.amdhsa_exception_fp_ieee_invalid_op 0
		.amdhsa_exception_fp_denorm_src 0
		.amdhsa_exception_fp_ieee_div_zero 0
		.amdhsa_exception_fp_ieee_overflow 0
		.amdhsa_exception_fp_ieee_underflow 0
		.amdhsa_exception_fp_ieee_inexact 0
		.amdhsa_exception_int_div_zero 0
	.end_amdhsa_kernel
	.section	.text._ZL24dequantize_block_iq2_xxsIfEvPKvPT_,"axG",@progbits,_ZL24dequantize_block_iq2_xxsIfEvPKvPT_,comdat
.Lfunc_end27:
	.size	_ZL24dequantize_block_iq2_xxsIfEvPKvPT_, .Lfunc_end27-_ZL24dequantize_block_iq2_xxsIfEvPKvPT_
                                        ; -- End function
	.section	.AMDGPU.csdata,"",@progbits
; Kernel info:
; codeLenInByte = 492
; NumSgprs: 14
; NumVgprs: 21
; NumAgprs: 0
; TotalNumVgprs: 21
; ScratchSize: 0
; MemoryBound: 0
; FloatMode: 240
; IeeeMode: 1
; LDSByteSize: 0 bytes/workgroup (compile time only)
; SGPRBlocks: 1
; VGPRBlocks: 2
; NumSGPRsForWavesPerEU: 14
; NumVGPRsForWavesPerEU: 21
; AccumOffset: 24
; Occupancy: 8
; WaveLimiterHint : 0
; COMPUTE_PGM_RSRC2:SCRATCH_EN: 0
; COMPUTE_PGM_RSRC2:USER_SGPR: 2
; COMPUTE_PGM_RSRC2:TRAP_HANDLER: 0
; COMPUTE_PGM_RSRC2:TGID_X_EN: 1
; COMPUTE_PGM_RSRC2:TGID_Y_EN: 0
; COMPUTE_PGM_RSRC2:TGID_Z_EN: 0
; COMPUTE_PGM_RSRC2:TIDIG_COMP_CNT: 0
; COMPUTE_PGM_RSRC3_GFX90A:ACCUM_OFFSET: 5
; COMPUTE_PGM_RSRC3_GFX90A:TG_SPLIT: 0
	.section	.text._ZL23dequantize_block_iq2_xsIfEvPKvPT_,"axG",@progbits,_ZL23dequantize_block_iq2_xsIfEvPKvPT_,comdat
	.globl	_ZL23dequantize_block_iq2_xsIfEvPKvPT_ ; -- Begin function _ZL23dequantize_block_iq2_xsIfEvPKvPT_
	.p2align	8
	.type	_ZL23dequantize_block_iq2_xsIfEvPKvPT_,@function
_ZL23dequantize_block_iq2_xsIfEvPKvPT_: ; @_ZL23dequantize_block_iq2_xsIfEvPKvPT_
; %bb.0:
	s_load_dwordx4 s[4:7], s[0:1], 0x0
	s_mov_b32 s3, 0
	s_lshl_b64 s[0:1], s[2:3], 10
	v_and_b32_e32 v6, 7, v0
	v_lshlrev_b32_e32 v2, 7, v6
	s_waitcnt lgkmcnt(0)
	s_add_u32 s0, s6, s0
	s_addc_u32 s1, s7, s1
	v_mov_b32_e32 v3, 0
	v_lshl_add_u64 v[4:5], s[0:1], 0, v[2:3]
	v_and_b32_e32 v1, 0x3f8, v0
	s_mul_i32 s0, s2, 0x4a
	v_lshlrev_b32_e32 v2, 2, v1
	s_mul_hi_u32 s1, s2, 0x4a
	s_add_u32 s0, s4, s0
	v_lshl_add_u64 v[8:9], v[4:5], 0, v[2:3]
	s_addc_u32 s1, s5, s1
	v_lshlrev_b32_e32 v2, 3, v6
	v_lshrrev_b32_e32 v7, 2, v0
	v_lshl_add_u64 v[4:5], s[0:1], 0, v[2:3]
	v_and_b32_e32 v2, 0xfe, v7
	v_lshl_add_u64 v[0:1], v[4:5], 0, v[2:3]
	global_load_ushort v10, v[0:1], off offset:2
	global_load_ushort v4, v3, s[0:1]
	global_load_ubyte v5, v6, s[0:1] offset:66
	v_mov_b32_e32 v0, 3
	s_getpc_b64 s[2:3]
	s_add_u32 s2, s2, _ZL10iq2xs_grid@rel32@lo+4
	s_addc_u32 s3, s3, _ZL10iq2xs_grid@rel32@hi+12
	s_getpc_b64 s[4:5]
	s_add_u32 s4, s4, _ZL12ksigns_iq2xs@rel32@lo+4
	s_addc_u32 s5, s5, _ZL12ksigns_iq2xs@rel32@hi+12
	s_waitcnt vmcnt(2)
	v_and_b32_e32 v1, 0x1ff, v10
	v_lshrrev_b16_e32 v2, 9, v10
	v_lshlrev_b32_sdwa v6, v0, v1 dst_sel:DWORD dst_unused:UNUSED_PAD src0_sel:DWORD src1_sel:WORD_0
	v_lshl_add_u64 v[0:1], v[2:3], 0, s[4:5]
	global_load_dwordx2 v[2:3], v6, s[2:3]
	global_load_sbyte v11, v[0:1], off
	v_and_b32_e32 v0, 0xfc, v7
	s_waitcnt vmcnt(3)
	v_cvt_f32_f16_e32 v1, v4
	s_waitcnt vmcnt(2)
	v_bfe_u32 v0, v5, v0, 4
	v_cvt_f32_ubyte0_e32 v0, v0
	v_add_f32_e32 v0, 0.5, v0
	v_mul_f32_e32 v0, v0, v1
	v_mul_f32_e32 v0, 0x3e800000, v0
	s_waitcnt vmcnt(1)
	v_cvt_f32_ubyte0_e32 v1, v2
	s_waitcnt vmcnt(0)
	v_and_b32_e32 v4, 1, v11
	v_cvt_f32_ubyte1_e32 v5, v2
	v_and_b32_e32 v6, 2, v11
	v_cvt_f32_ubyte2_e32 v7, v2
	v_cvt_f32_ubyte3_e32 v2, v2
	v_cvt_f32_ubyte0_e32 v14, v3
	v_cvt_f32_ubyte1_e32 v16, v3
	v_cvt_f32_ubyte2_e32 v18, v3
	v_cvt_f32_ubyte3_e32 v3, v3
	v_mul_f32_e32 v1, v0, v1
	v_cmp_eq_u16_e32 vcc, 0, v4
	v_and_b32_e32 v12, 4, v11
	v_mul_f32_e32 v5, v0, v5
	v_mul_f32_e32 v7, v0, v7
	v_mul_f32_e32 v19, v0, v2
	v_mul_f32_e32 v14, v0, v14
	v_mul_f32_e32 v16, v0, v16
	v_mul_f32_e32 v18, v0, v18
	v_mul_f32_e32 v20, v0, v3
	v_cndmask_b32_e64 v0, -v1, v1, vcc
	v_cmp_eq_u16_e32 vcc, 0, v6
	v_and_b32_e32 v13, 8, v11
	v_and_b32_e32 v15, 16, v11
	v_cndmask_b32_e64 v1, -v5, v5, vcc
	v_cmp_eq_u16_e32 vcc, 0, v12
	v_and_b32_e32 v17, 32, v11
	s_nop 0
	v_cndmask_b32_e64 v2, -v7, v7, vcc
	v_cmp_eq_u16_e32 vcc, 0, v13
	s_nop 1
	v_cndmask_b32_e64 v3, -v19, v19, vcc
	v_cmp_eq_u16_e32 vcc, 0, v15
	;; [unrolled: 3-line block ×3, first 2 shown]
	s_nop 1
	v_cndmask_b32_e64 v5, -v16, v16, vcc
	v_cmp_gt_i16_e32 vcc, 0, v10
	s_nop 1
	v_cndmask_b32_e64 v6, v18, -v18, vcc
	v_cmp_gt_i16_e32 vcc, 0, v11
	s_nop 1
	v_cndmask_b32_e64 v7, v20, -v20, vcc
	global_store_dwordx4 v[8:9], v[0:3], off
	global_store_dwordx4 v[8:9], v[4:7], off offset:16
	s_endpgm
	.section	.rodata,"a",@progbits
	.p2align	6, 0x0
	.amdhsa_kernel _ZL23dequantize_block_iq2_xsIfEvPKvPT_
		.amdhsa_group_segment_fixed_size 0
		.amdhsa_private_segment_fixed_size 0
		.amdhsa_kernarg_size 16
		.amdhsa_user_sgpr_count 2
		.amdhsa_user_sgpr_dispatch_ptr 0
		.amdhsa_user_sgpr_queue_ptr 0
		.amdhsa_user_sgpr_kernarg_segment_ptr 1
		.amdhsa_user_sgpr_dispatch_id 0
		.amdhsa_user_sgpr_kernarg_preload_length 0
		.amdhsa_user_sgpr_kernarg_preload_offset 0
		.amdhsa_user_sgpr_private_segment_size 0
		.amdhsa_uses_dynamic_stack 0
		.amdhsa_enable_private_segment 0
		.amdhsa_system_sgpr_workgroup_id_x 1
		.amdhsa_system_sgpr_workgroup_id_y 0
		.amdhsa_system_sgpr_workgroup_id_z 0
		.amdhsa_system_sgpr_workgroup_info 0
		.amdhsa_system_vgpr_workitem_id 0
		.amdhsa_next_free_vgpr 21
		.amdhsa_next_free_sgpr 8
		.amdhsa_accum_offset 24
		.amdhsa_reserve_vcc 1
		.amdhsa_float_round_mode_32 0
		.amdhsa_float_round_mode_16_64 0
		.amdhsa_float_denorm_mode_32 3
		.amdhsa_float_denorm_mode_16_64 3
		.amdhsa_dx10_clamp 1
		.amdhsa_ieee_mode 1
		.amdhsa_fp16_overflow 0
		.amdhsa_tg_split 0
		.amdhsa_exception_fp_ieee_invalid_op 0
		.amdhsa_exception_fp_denorm_src 0
		.amdhsa_exception_fp_ieee_div_zero 0
		.amdhsa_exception_fp_ieee_overflow 0
		.amdhsa_exception_fp_ieee_underflow 0
		.amdhsa_exception_fp_ieee_inexact 0
		.amdhsa_exception_int_div_zero 0
	.end_amdhsa_kernel
	.section	.text._ZL23dequantize_block_iq2_xsIfEvPKvPT_,"axG",@progbits,_ZL23dequantize_block_iq2_xsIfEvPKvPT_,comdat
.Lfunc_end28:
	.size	_ZL23dequantize_block_iq2_xsIfEvPKvPT_, .Lfunc_end28-_ZL23dequantize_block_iq2_xsIfEvPKvPT_
                                        ; -- End function
	.section	.AMDGPU.csdata,"",@progbits
; Kernel info:
; codeLenInByte = 524
; NumSgprs: 14
; NumVgprs: 21
; NumAgprs: 0
; TotalNumVgprs: 21
; ScratchSize: 0
; MemoryBound: 0
; FloatMode: 240
; IeeeMode: 1
; LDSByteSize: 0 bytes/workgroup (compile time only)
; SGPRBlocks: 1
; VGPRBlocks: 2
; NumSGPRsForWavesPerEU: 14
; NumVGPRsForWavesPerEU: 21
; AccumOffset: 24
; Occupancy: 8
; WaveLimiterHint : 0
; COMPUTE_PGM_RSRC2:SCRATCH_EN: 0
; COMPUTE_PGM_RSRC2:USER_SGPR: 2
; COMPUTE_PGM_RSRC2:TRAP_HANDLER: 0
; COMPUTE_PGM_RSRC2:TGID_X_EN: 1
; COMPUTE_PGM_RSRC2:TGID_Y_EN: 0
; COMPUTE_PGM_RSRC2:TGID_Z_EN: 0
; COMPUTE_PGM_RSRC2:TIDIG_COMP_CNT: 0
; COMPUTE_PGM_RSRC3_GFX90A:ACCUM_OFFSET: 5
; COMPUTE_PGM_RSRC3_GFX90A:TG_SPLIT: 0
	.section	.text._ZL22dequantize_block_iq2_sIfEvPKvPT_,"axG",@progbits,_ZL22dequantize_block_iq2_sIfEvPKvPT_,comdat
	.globl	_ZL22dequantize_block_iq2_sIfEvPKvPT_ ; -- Begin function _ZL22dequantize_block_iq2_sIfEvPKvPT_
	.p2align	8
	.type	_ZL22dequantize_block_iq2_sIfEvPKvPT_,@function
_ZL22dequantize_block_iq2_sIfEvPKvPT_:  ; @_ZL22dequantize_block_iq2_sIfEvPKvPT_
; %bb.0:
	s_load_dwordx4 s[4:7], s[0:1], 0x0
	s_mov_b32 s3, 0
	s_lshl_b64 s[0:1], s[2:3], 10
	v_mov_b32_e32 v3, 0
	v_and_b32_e32 v8, 7, v0
	s_waitcnt lgkmcnt(0)
	s_add_u32 s0, s6, s0
	s_addc_u32 s1, s7, s1
	s_mul_hi_u32 s3, s2, 0x52
	s_mulk_i32 s2, 0x52
	v_lshrrev_b32_e32 v2, 3, v0
	s_add_u32 s2, s4, s2
	v_lshlrev_b32_e32 v4, 2, v8
	v_mov_b32_e32 v5, v3
	s_addc_u32 s3, s5, s3
	v_lshl_add_u64 v[4:5], v[4:5], 0, v[2:3]
	v_lshl_add_u64 v[6:7], s[2:3], 0, v[4:5]
	global_load_ubyte v1, v8, s[2:3] offset:66
	global_load_ubyte v9, v[6:7], off offset:2
	s_add_u32 s4, s2, 2
	s_addc_u32 s5, s3, 0
	v_lshlrev_b32_e32 v2, 1, v2
	v_lshl_add_u64 v[4:5], s[4:5], 0, v[4:5]
	global_load_ushort v6, v3, s[2:3]
	global_load_sbyte v7, v[4:5], off offset:32
	global_load_ubyte v10, v8, s[2:3] offset:74
	v_sub_u32_e32 v2, 8, v2
	s_movk_i32 s4, 0x300
	s_getpc_b64 s[2:3]
	s_add_u32 s2, s2, _ZL9iq2s_grid@rel32@lo+4
	s_addc_u32 s3, s3, _ZL9iq2s_grid@rel32@hi+12
	s_waitcnt vmcnt(4)
	v_lshlrev_b32_e32 v1, v2, v1
	s_waitcnt vmcnt(3)
	v_and_or_b32 v1, v1, s4, v9
	v_lshlrev_b32_e32 v1, 3, v1
	global_load_dwordx2 v[4:5], v1, s[2:3]
	v_mov_b32_e32 v1, v3
	v_and_b32_e32 v2, 0x3f8, v0
	v_lshrrev_b32_e32 v9, 2, v0
	v_lshlrev_b32_e32 v0, 7, v8
	v_lshlrev_b32_e32 v2, 2, v2
	v_lshl_add_u64 v[0:1], s[0:1], 0, v[0:1]
	v_and_b32_e32 v11, 0xfc, v9
	v_lshl_add_u64 v[8:9], v[0:1], 0, v[2:3]
	s_waitcnt vmcnt(3)
	v_cvt_f32_f16_e32 v0, v6
	s_waitcnt vmcnt(1)
	v_bfe_u32 v1, v10, v11, 4
	v_cvt_f32_ubyte0_e32 v1, v1
	v_add_f32_e32 v1, 0.5, v1
	v_mul_f32_e32 v0, v1, v0
	v_and_b32_e32 v2, 1, v7
	v_mul_f32_e32 v0, 0x3e800000, v0
	v_and_b32_e32 v3, 2, v7
	v_cmp_eq_u16_e32 vcc, 0, v2
	v_and_b32_e32 v6, 4, v7
	v_and_b32_e32 v10, 8, v7
	;; [unrolled: 1-line block ×5, first 2 shown]
	s_waitcnt vmcnt(0)
	v_cvt_f32_ubyte0_e32 v1, v4
	v_cvt_f32_ubyte1_e32 v14, v4
	v_cvt_f32_ubyte2_e32 v15, v4
	v_cvt_f32_ubyte3_e32 v4, v4
	v_cvt_f32_ubyte0_e32 v16, v5
	v_cvt_f32_ubyte1_e32 v17, v5
	v_cvt_f32_ubyte2_e32 v18, v5
	v_cvt_f32_ubyte3_e32 v5, v5
	v_mul_f32_e32 v1, v0, v1
	v_mul_f32_e32 v14, v0, v14
	;; [unrolled: 1-line block ×8, first 2 shown]
	v_cndmask_b32_e64 v0, -v1, v1, vcc
	v_cmp_eq_u16_e32 vcc, 0, v3
	s_nop 1
	v_cndmask_b32_e64 v1, -v14, v14, vcc
	v_cmp_eq_u16_e32 vcc, 0, v6
	s_nop 1
	v_cndmask_b32_e64 v2, -v15, v15, vcc
	v_cmp_eq_u16_e32 vcc, 0, v10
	s_nop 1
	v_cndmask_b32_e64 v3, -v4, v4, vcc
	v_cmp_eq_u16_e32 vcc, 0, v11
	s_nop 1
	v_cndmask_b32_e64 v4, -v16, v16, vcc
	v_cmp_eq_u16_e32 vcc, 0, v12
	s_nop 1
	v_cndmask_b32_e64 v5, -v17, v17, vcc
	v_cmp_eq_u16_e32 vcc, 0, v13
	s_nop 1
	v_cndmask_b32_e64 v6, -v18, v18, vcc
	v_cmp_gt_i16_e32 vcc, 0, v7
	s_nop 1
	v_cndmask_b32_e64 v7, v19, -v19, vcc
	global_store_dwordx4 v[8:9], v[0:3], off
	global_store_dwordx4 v[8:9], v[4:7], off offset:16
	s_endpgm
	.section	.rodata,"a",@progbits
	.p2align	6, 0x0
	.amdhsa_kernel _ZL22dequantize_block_iq2_sIfEvPKvPT_
		.amdhsa_group_segment_fixed_size 0
		.amdhsa_private_segment_fixed_size 0
		.amdhsa_kernarg_size 16
		.amdhsa_user_sgpr_count 2
		.amdhsa_user_sgpr_dispatch_ptr 0
		.amdhsa_user_sgpr_queue_ptr 0
		.amdhsa_user_sgpr_kernarg_segment_ptr 1
		.amdhsa_user_sgpr_dispatch_id 0
		.amdhsa_user_sgpr_kernarg_preload_length 0
		.amdhsa_user_sgpr_kernarg_preload_offset 0
		.amdhsa_user_sgpr_private_segment_size 0
		.amdhsa_uses_dynamic_stack 0
		.amdhsa_enable_private_segment 0
		.amdhsa_system_sgpr_workgroup_id_x 1
		.amdhsa_system_sgpr_workgroup_id_y 0
		.amdhsa_system_sgpr_workgroup_id_z 0
		.amdhsa_system_sgpr_workgroup_info 0
		.amdhsa_system_vgpr_workitem_id 0
		.amdhsa_next_free_vgpr 20
		.amdhsa_next_free_sgpr 8
		.amdhsa_accum_offset 20
		.amdhsa_reserve_vcc 1
		.amdhsa_float_round_mode_32 0
		.amdhsa_float_round_mode_16_64 0
		.amdhsa_float_denorm_mode_32 3
		.amdhsa_float_denorm_mode_16_64 3
		.amdhsa_dx10_clamp 1
		.amdhsa_ieee_mode 1
		.amdhsa_fp16_overflow 0
		.amdhsa_tg_split 0
		.amdhsa_exception_fp_ieee_invalid_op 0
		.amdhsa_exception_fp_denorm_src 0
		.amdhsa_exception_fp_ieee_div_zero 0
		.amdhsa_exception_fp_ieee_overflow 0
		.amdhsa_exception_fp_ieee_underflow 0
		.amdhsa_exception_fp_ieee_inexact 0
		.amdhsa_exception_int_div_zero 0
	.end_amdhsa_kernel
	.section	.text._ZL22dequantize_block_iq2_sIfEvPKvPT_,"axG",@progbits,_ZL22dequantize_block_iq2_sIfEvPKvPT_,comdat
.Lfunc_end29:
	.size	_ZL22dequantize_block_iq2_sIfEvPKvPT_, .Lfunc_end29-_ZL22dequantize_block_iq2_sIfEvPKvPT_
                                        ; -- End function
	.section	.AMDGPU.csdata,"",@progbits
; Kernel info:
; codeLenInByte = 532
; NumSgprs: 14
; NumVgprs: 20
; NumAgprs: 0
; TotalNumVgprs: 20
; ScratchSize: 0
; MemoryBound: 0
; FloatMode: 240
; IeeeMode: 1
; LDSByteSize: 0 bytes/workgroup (compile time only)
; SGPRBlocks: 1
; VGPRBlocks: 2
; NumSGPRsForWavesPerEU: 14
; NumVGPRsForWavesPerEU: 20
; AccumOffset: 20
; Occupancy: 8
; WaveLimiterHint : 0
; COMPUTE_PGM_RSRC2:SCRATCH_EN: 0
; COMPUTE_PGM_RSRC2:USER_SGPR: 2
; COMPUTE_PGM_RSRC2:TRAP_HANDLER: 0
; COMPUTE_PGM_RSRC2:TGID_X_EN: 1
; COMPUTE_PGM_RSRC2:TGID_Y_EN: 0
; COMPUTE_PGM_RSRC2:TGID_Z_EN: 0
; COMPUTE_PGM_RSRC2:TIDIG_COMP_CNT: 0
; COMPUTE_PGM_RSRC3_GFX90A:ACCUM_OFFSET: 4
; COMPUTE_PGM_RSRC3_GFX90A:TG_SPLIT: 0
	.section	.text._ZL24dequantize_block_iq3_xxsIfEvPKvPT_,"axG",@progbits,_ZL24dequantize_block_iq3_xxsIfEvPKvPT_,comdat
	.globl	_ZL24dequantize_block_iq3_xxsIfEvPKvPT_ ; -- Begin function _ZL24dequantize_block_iq3_xxsIfEvPKvPT_
	.p2align	8
	.type	_ZL24dequantize_block_iq3_xxsIfEvPKvPT_,@function
_ZL24dequantize_block_iq3_xxsIfEvPKvPT_: ; @_ZL24dequantize_block_iq3_xxsIfEvPKvPT_
; %bb.0:
	s_load_dwordx4 s[4:7], s[0:1], 0x0
	s_mov_b32 s3, 0
	s_lshl_b64 s[0:1], s[2:3], 10
	v_and_b32_e32 v6, 7, v0
	v_lshlrev_b32_e32 v2, 7, v6
	s_waitcnt lgkmcnt(0)
	s_add_u32 s0, s6, s0
	s_addc_u32 s1, s7, s1
	v_mov_b32_e32 v3, 0
	v_lshrrev_b32_e32 v8, 3, v0
	v_lshl_add_u64 v[4:5], s[0:1], 0, v[2:3]
	v_and_b32_e32 v0, 0x3f8, v0
	s_mul_i32 s0, s2, 0x62
	v_lshlrev_b32_e32 v2, 2, v0
	s_mul_hi_u32 s1, s2, 0x62
	s_add_u32 s0, s4, s0
	v_lshl_add_u64 v[0:1], v[4:5], 0, v[2:3]
	s_addc_u32 s1, s5, s1
	v_lshlrev_b32_e32 v2, 3, v6
	v_lshl_add_u64 v[4:5], s[0:1], 0, v[2:3]
	v_lshlrev_b32_e32 v2, 2, v6
	v_sub_co_u32_e32 v6, vcc, v4, v2
	v_lshlrev_b32_e32 v2, 1, v8
	s_nop 0
	v_subbrev_co_u32_e32 v7, vcc, 0, v5, vcc
	v_lshl_add_u64 v[4:5], v[4:5], 0, v[2:3]
	global_load_ushort v2, v[4:5], off offset:2
	global_load_ushort v9, v3, s[0:1]
	global_load_dword v10, v[6:7], off offset:66
	v_mov_b32_e32 v3, 2
	s_getpc_b64 s[0:1]
	s_add_u32 s0, s0, _ZL11iq3xxs_grid@rel32@lo+4
	s_addc_u32 s1, s1, _ZL11iq3xxs_grid@rel32@hi+12
	v_mul_u32_u24_e32 v4, 7, v8
	s_getpc_b64 s[2:3]
	s_add_u32 s2, s2, _ZL12ksigns_iq2xs@rel32@lo+4
	s_addc_u32 s3, s3, _ZL12ksigns_iq2xs@rel32@hi+12
	s_waitcnt vmcnt(2)
	v_lshlrev_b32_sdwa v5, v3, v2 dst_sel:DWORD dst_unused:UNUSED_PAD src0_sel:DWORD src1_sel:BYTE_0
	v_lshlrev_b32_sdwa v2, v3, v2 dst_sel:DWORD dst_unused:UNUSED_PAD src0_sel:DWORD src1_sel:BYTE_1
	s_waitcnt vmcnt(0)
	v_bfe_u32 v8, v10, v4, 7
	global_load_dword v3, v5, s[0:1]
	global_load_sbyte v11, v8, s[2:3]
	global_load_dword v4, v2, s[0:1]
	v_cvt_f32_f16_e32 v2, v9
	v_lshrrev_b32_e32 v5, 28, v10
	v_cvt_f32_ubyte0_e32 v5, v5
	v_add_f32_e32 v5, 0.5, v5
	v_mul_f32_e32 v2, v5, v2
	v_mul_f32_e32 v2, 0.5, v2
	s_waitcnt vmcnt(2)
	v_cvt_f32_ubyte0_e32 v5, v3
	s_waitcnt vmcnt(1)
	v_and_b32_e32 v6, 1, v11
	s_waitcnt vmcnt(0)
	v_cvt_f32_ubyte0_e32 v7, v4
	v_and_b32_e32 v9, 16, v11
	v_cvt_f32_ubyte1_e32 v10, v3
	v_cvt_f32_ubyte1_e32 v13, v4
	v_cvt_f32_ubyte2_e32 v15, v3
	v_cvt_f32_ubyte2_e32 v17, v4
	v_cvt_f32_ubyte3_e32 v3, v3
	v_cvt_f32_ubyte3_e32 v4, v4
	v_mul_f32_e32 v5, v2, v5
	v_cmp_eq_u16_e32 vcc, 0, v6
	v_and_b32_e32 v12, 2, v11
	v_mul_f32_e32 v7, v2, v7
	v_mul_f32_e32 v10, v2, v10
	;; [unrolled: 1-line block ×7, first 2 shown]
	v_cndmask_b32_e64 v2, -v5, v5, vcc
	v_cmp_eq_u16_e32 vcc, 0, v9
	v_and_b32_e32 v14, 32, v11
	v_and_b32_e32 v16, 4, v11
	v_cndmask_b32_e64 v6, -v7, v7, vcc
	v_cmp_eq_u16_e32 vcc, 0, v12
	v_and_b32_e32 v18, 8, v11
	s_nop 0
	v_cndmask_b32_e64 v3, -v10, v10, vcc
	v_cmp_eq_u16_e32 vcc, 0, v14
	s_nop 1
	v_cndmask_b32_e64 v7, -v13, v13, vcc
	v_cmp_eq_u16_e32 vcc, 0, v16
	s_nop 1
	v_cndmask_b32_e64 v4, -v15, v15, vcc
	v_cmp_gt_u32_e32 vcc, 64, v8
	s_nop 1
	v_cndmask_b32_e64 v8, -v17, v17, vcc
	v_cmp_eq_u16_e32 vcc, 0, v18
	s_nop 1
	v_cndmask_b32_e64 v5, -v19, v19, vcc
	v_cmp_gt_i16_e32 vcc, 0, v11
	s_nop 1
	v_cndmask_b32_e64 v9, v20, -v20, vcc
	global_store_dwordx4 v[0:1], v[2:5], off
	global_store_dwordx4 v[0:1], v[6:9], off offset:16
	s_endpgm
	.section	.rodata,"a",@progbits
	.p2align	6, 0x0
	.amdhsa_kernel _ZL24dequantize_block_iq3_xxsIfEvPKvPT_
		.amdhsa_group_segment_fixed_size 0
		.amdhsa_private_segment_fixed_size 0
		.amdhsa_kernarg_size 16
		.amdhsa_user_sgpr_count 2
		.amdhsa_user_sgpr_dispatch_ptr 0
		.amdhsa_user_sgpr_queue_ptr 0
		.amdhsa_user_sgpr_kernarg_segment_ptr 1
		.amdhsa_user_sgpr_dispatch_id 0
		.amdhsa_user_sgpr_kernarg_preload_length 0
		.amdhsa_user_sgpr_kernarg_preload_offset 0
		.amdhsa_user_sgpr_private_segment_size 0
		.amdhsa_uses_dynamic_stack 0
		.amdhsa_enable_private_segment 0
		.amdhsa_system_sgpr_workgroup_id_x 1
		.amdhsa_system_sgpr_workgroup_id_y 0
		.amdhsa_system_sgpr_workgroup_id_z 0
		.amdhsa_system_sgpr_workgroup_info 0
		.amdhsa_system_vgpr_workitem_id 0
		.amdhsa_next_free_vgpr 21
		.amdhsa_next_free_sgpr 8
		.amdhsa_accum_offset 24
		.amdhsa_reserve_vcc 1
		.amdhsa_float_round_mode_32 0
		.amdhsa_float_round_mode_16_64 0
		.amdhsa_float_denorm_mode_32 3
		.amdhsa_float_denorm_mode_16_64 3
		.amdhsa_dx10_clamp 1
		.amdhsa_ieee_mode 1
		.amdhsa_fp16_overflow 0
		.amdhsa_tg_split 0
		.amdhsa_exception_fp_ieee_invalid_op 0
		.amdhsa_exception_fp_denorm_src 0
		.amdhsa_exception_fp_ieee_div_zero 0
		.amdhsa_exception_fp_ieee_overflow 0
		.amdhsa_exception_fp_ieee_underflow 0
		.amdhsa_exception_fp_ieee_inexact 0
		.amdhsa_exception_int_div_zero 0
	.end_amdhsa_kernel
	.section	.text._ZL24dequantize_block_iq3_xxsIfEvPKvPT_,"axG",@progbits,_ZL24dequantize_block_iq3_xxsIfEvPKvPT_,comdat
.Lfunc_end30:
	.size	_ZL24dequantize_block_iq3_xxsIfEvPKvPT_, .Lfunc_end30-_ZL24dequantize_block_iq3_xxsIfEvPKvPT_
                                        ; -- End function
	.section	.AMDGPU.csdata,"",@progbits
; Kernel info:
; codeLenInByte = 528
; NumSgprs: 14
; NumVgprs: 21
; NumAgprs: 0
; TotalNumVgprs: 21
; ScratchSize: 0
; MemoryBound: 0
; FloatMode: 240
; IeeeMode: 1
; LDSByteSize: 0 bytes/workgroup (compile time only)
; SGPRBlocks: 1
; VGPRBlocks: 2
; NumSGPRsForWavesPerEU: 14
; NumVGPRsForWavesPerEU: 21
; AccumOffset: 24
; Occupancy: 8
; WaveLimiterHint : 0
; COMPUTE_PGM_RSRC2:SCRATCH_EN: 0
; COMPUTE_PGM_RSRC2:USER_SGPR: 2
; COMPUTE_PGM_RSRC2:TRAP_HANDLER: 0
; COMPUTE_PGM_RSRC2:TGID_X_EN: 1
; COMPUTE_PGM_RSRC2:TGID_Y_EN: 0
; COMPUTE_PGM_RSRC2:TGID_Z_EN: 0
; COMPUTE_PGM_RSRC2:TIDIG_COMP_CNT: 0
; COMPUTE_PGM_RSRC3_GFX90A:ACCUM_OFFSET: 5
; COMPUTE_PGM_RSRC3_GFX90A:TG_SPLIT: 0
	.section	.text._ZL22dequantize_block_iq1_sIfEvPKvPT_,"axG",@progbits,_ZL22dequantize_block_iq1_sIfEvPKvPT_,comdat
	.globl	_ZL22dequantize_block_iq1_sIfEvPKvPT_ ; -- Begin function _ZL22dequantize_block_iq1_sIfEvPKvPT_
	.p2align	8
	.type	_ZL22dequantize_block_iq1_sIfEvPKvPT_,@function
_ZL22dequantize_block_iq1_sIfEvPKvPT_:  ; @_ZL22dequantize_block_iq1_sIfEvPKvPT_
; %bb.0:
	s_load_dwordx4 s[4:7], s[0:1], 0x0
	s_mov_b32 s3, 0
	s_lshl_b64 s[0:1], s[2:3], 10
	s_mul_hi_u32 s3, s2, 50
	s_mul_i32 s2, s2, 50
	s_waitcnt lgkmcnt(0)
	s_add_u32 s0, s6, s0
	s_addc_u32 s1, s7, s1
	v_and_b32_e32 v6, 7, v0
	s_add_u32 s2, s4, s2
	v_mov_b32_e32 v3, 0
	s_addc_u32 s3, s5, s3
	v_lshlrev_b32_e32 v1, 1, v6
	v_lshrrev_b32_e32 v2, 3, v0
	global_load_ushort v7, v1, s[2:3] offset:34
	v_lshlrev_b32_e32 v4, 2, v6
	v_mov_b32_e32 v5, v3
	v_lshl_add_u64 v[4:5], v[4:5], 0, v[2:3]
	v_lshl_add_u64 v[4:5], s[2:3], 0, v[4:5]
	global_load_ubyte v1, v[4:5], off offset:2
	global_load_ushort v10, v3, s[2:3]
	v_mul_u32_u24_e32 v2, 3, v2
	s_movk_i32 s4, 0x700
	s_getpc_b64 s[2:3]
	s_add_u32 s2, s2, _ZL13iq1s_grid_gpu@rel32@lo+4
	s_addc_u32 s3, s3, _ZL13iq1s_grid_gpu@rel32@hi+12
	v_mov_b32_e32 v5, 0xbf900000
	v_mov_b32_e32 v11, 0xbf600000
	s_waitcnt vmcnt(2)
	v_lshrrev_b32_sdwa v2, v2, v7 dst_sel:DWORD dst_unused:UNUSED_PAD src0_sel:DWORD src1_sel:WORD_0
	v_lshlrev_b32_e32 v2, 8, v2
	v_cmp_lt_i16_e32 vcc, -1, v7
	s_waitcnt vmcnt(1)
	v_and_or_b32 v1, v2, s4, v1
	v_lshlrev_b32_e32 v1, 2, v1
	global_load_dword v4, v1, s[2:3]
	v_mov_b32_e32 v1, v3
	v_and_b32_e32 v2, 0x3f8, v0
	v_lshlrev_b32_e32 v0, 7, v6
	v_lshlrev_b32_e32 v2, 2, v2
	v_lshl_add_u64 v[0:1], s[0:1], 0, v[0:1]
	v_lshl_add_u64 v[8:9], v[0:1], 0, v[2:3]
	s_waitcnt vmcnt(1)
	v_cvt_f32_f16_e32 v1, v10
	v_lshrrev_b16_e32 v2, 11, v7
	v_and_b32_e32 v2, 14, v2
	v_or_b32_e32 v2, 1, v2
	v_cvt_f32_ubyte0_e32 v2, v2
	v_cndmask_b32_e32 v0, v5, v11, vcc
	v_mul_f32_e32 v6, v1, v2
	s_waitcnt vmcnt(0)
	v_and_b32_e32 v1, 0xf0f0f0f, v4
	v_bfe_u32 v2, v4, 8, 4
	v_and_b32_e32 v5, 15, v4
	v_bfe_u32 v7, v4, 16, 4
	v_bfe_u32 v10, v4, 12, 4
	v_bfe_u32 v12, v4, 4, 4
	v_lshrrev_b32_e32 v13, 28, v4
	v_bfe_u32 v14, v4, 20, 4
	v_cvt_f32_ubyte0_e32 v3, v2
	v_cvt_f32_ubyte0_e32 v2, v5
	v_cvt_f32_ubyte3_e32 v5, v1
	v_cvt_f32_ubyte0_e32 v4, v7
	v_cvt_f32_ubyte0_e32 v11, v10
	;; [unrolled: 1-line block ×5, first 2 shown]
	v_pk_add_f32 v[2:3], v[0:1], v[2:3] op_sel_hi:[0,1]
	v_pk_add_f32 v[4:5], v[0:1], v[4:5] op_sel_hi:[0,1]
	;; [unrolled: 1-line block ×4, first 2 shown]
	v_pk_mul_f32 v[0:1], v[6:7], v[2:3] op_sel_hi:[0,1]
	v_pk_mul_f32 v[2:3], v[6:7], v[4:5] op_sel_hi:[0,1]
	;; [unrolled: 1-line block ×4, first 2 shown]
	global_store_dwordx4 v[8:9], v[0:3], off
	global_store_dwordx4 v[8:9], v[4:7], off offset:16
	s_endpgm
	.section	.rodata,"a",@progbits
	.p2align	6, 0x0
	.amdhsa_kernel _ZL22dequantize_block_iq1_sIfEvPKvPT_
		.amdhsa_group_segment_fixed_size 0
		.amdhsa_private_segment_fixed_size 0
		.amdhsa_kernarg_size 16
		.amdhsa_user_sgpr_count 2
		.amdhsa_user_sgpr_dispatch_ptr 0
		.amdhsa_user_sgpr_queue_ptr 0
		.amdhsa_user_sgpr_kernarg_segment_ptr 1
		.amdhsa_user_sgpr_dispatch_id 0
		.amdhsa_user_sgpr_kernarg_preload_length 0
		.amdhsa_user_sgpr_kernarg_preload_offset 0
		.amdhsa_user_sgpr_private_segment_size 0
		.amdhsa_uses_dynamic_stack 0
		.amdhsa_enable_private_segment 0
		.amdhsa_system_sgpr_workgroup_id_x 1
		.amdhsa_system_sgpr_workgroup_id_y 0
		.amdhsa_system_sgpr_workgroup_id_z 0
		.amdhsa_system_sgpr_workgroup_info 0
		.amdhsa_system_vgpr_workitem_id 0
		.amdhsa_next_free_vgpr 15
		.amdhsa_next_free_sgpr 8
		.amdhsa_accum_offset 16
		.amdhsa_reserve_vcc 1
		.amdhsa_float_round_mode_32 0
		.amdhsa_float_round_mode_16_64 0
		.amdhsa_float_denorm_mode_32 3
		.amdhsa_float_denorm_mode_16_64 3
		.amdhsa_dx10_clamp 1
		.amdhsa_ieee_mode 1
		.amdhsa_fp16_overflow 0
		.amdhsa_tg_split 0
		.amdhsa_exception_fp_ieee_invalid_op 0
		.amdhsa_exception_fp_denorm_src 0
		.amdhsa_exception_fp_ieee_div_zero 0
		.amdhsa_exception_fp_ieee_overflow 0
		.amdhsa_exception_fp_ieee_underflow 0
		.amdhsa_exception_fp_ieee_inexact 0
		.amdhsa_exception_int_div_zero 0
	.end_amdhsa_kernel
	.section	.text._ZL22dequantize_block_iq1_sIfEvPKvPT_,"axG",@progbits,_ZL22dequantize_block_iq1_sIfEvPKvPT_,comdat
.Lfunc_end31:
	.size	_ZL22dequantize_block_iq1_sIfEvPKvPT_, .Lfunc_end31-_ZL22dequantize_block_iq1_sIfEvPKvPT_
                                        ; -- End function
	.section	.AMDGPU.csdata,"",@progbits
; Kernel info:
; codeLenInByte = 440
; NumSgprs: 14
; NumVgprs: 15
; NumAgprs: 0
; TotalNumVgprs: 15
; ScratchSize: 0
; MemoryBound: 0
; FloatMode: 240
; IeeeMode: 1
; LDSByteSize: 0 bytes/workgroup (compile time only)
; SGPRBlocks: 1
; VGPRBlocks: 1
; NumSGPRsForWavesPerEU: 14
; NumVGPRsForWavesPerEU: 15
; AccumOffset: 16
; Occupancy: 8
; WaveLimiterHint : 0
; COMPUTE_PGM_RSRC2:SCRATCH_EN: 0
; COMPUTE_PGM_RSRC2:USER_SGPR: 2
; COMPUTE_PGM_RSRC2:TRAP_HANDLER: 0
; COMPUTE_PGM_RSRC2:TGID_X_EN: 1
; COMPUTE_PGM_RSRC2:TGID_Y_EN: 0
; COMPUTE_PGM_RSRC2:TGID_Z_EN: 0
; COMPUTE_PGM_RSRC2:TIDIG_COMP_CNT: 0
; COMPUTE_PGM_RSRC3_GFX90A:ACCUM_OFFSET: 3
; COMPUTE_PGM_RSRC3_GFX90A:TG_SPLIT: 0
	.section	.text._ZL22dequantize_block_iq1_mIfEvPKvPT_,"axG",@progbits,_ZL22dequantize_block_iq1_mIfEvPKvPT_,comdat
	.globl	_ZL22dequantize_block_iq1_mIfEvPKvPT_ ; -- Begin function _ZL22dequantize_block_iq1_mIfEvPKvPT_
	.p2align	8
	.type	_ZL22dequantize_block_iq1_mIfEvPKvPT_,@function
_ZL22dequantize_block_iq1_mIfEvPKvPT_:  ; @_ZL22dequantize_block_iq1_mIfEvPKvPT_
; %bb.0:
	s_load_dwordx4 s[4:7], s[0:1], 0x0
	s_mov_b32 s3, 0
	s_lshl_b64 s[0:1], s[2:3], 10
	v_mov_b32_e32 v3, 0
	v_and_b32_e32 v10, 7, v0
	s_waitcnt lgkmcnt(0)
	s_add_u32 s0, s6, s0
	s_addc_u32 s1, s7, s1
	s_mul_hi_u32 s3, s2, 56
	s_mul_i32 s2, s2, 56
	s_add_u32 s2, s4, s2
	v_lshlrev_b32_e32 v4, 1, v10
	v_mov_b32_e32 v5, v3
	v_lshrrev_b32_e32 v6, 4, v0
	v_mov_b32_e32 v7, v3
	s_addc_u32 s3, s5, s3
	v_lshl_add_u64 v[4:5], v[4:5], 0, v[6:7]
	v_lshl_add_u64 v[6:7], s[2:3], 0, v[4:5]
	v_lshrrev_b32_e32 v2, 3, v0
	global_load_ubyte v1, v[6:7], off offset:32
	v_lshlrev_b32_e32 v6, 2, v10
	v_mov_b32_e32 v7, v3
	v_lshl_add_u64 v[6:7], v[6:7], 0, v[2:3]
	v_lshl_add_u64 v[6:7], s[2:3], 0, v[6:7]
	global_load_ubyte v2, v[6:7], off
	global_load_dwordx2 v[8:9], v3, s[2:3] offset:48
	v_lshrrev_b32_e32 v5, 1, v4
	v_lshrrev_b32_e32 v6, 1, v0
	v_and_b32_e32 v5, 62, v5
	v_and_b32_e32 v6, 4, v6
	global_load_ushort v5, v5, s[2:3] offset:48
	s_movk_i32 s4, 0x700
	s_getpc_b64 s[2:3]
	s_add_u32 s2, s2, _ZL13iq1s_grid_gpu@rel32@lo+4
	s_addc_u32 s3, s3, _ZL13iq1s_grid_gpu@rel32@hi+12
	v_mov_b32_e32 v12, 0xffff
	v_and_b32_e32 v4, 3, v4
	v_mul_u32_u24_e32 v4, 3, v4
	v_mov_b32_e32 v13, 0xbf900000
	v_mov_b32_e32 v14, 0xbf600000
	s_waitcnt vmcnt(3)
	v_lshrrev_b32_e32 v6, v6, v1
	v_lshlrev_b32_e32 v1, 8, v6
	s_waitcnt vmcnt(2)
	v_and_or_b32 v1, v1, s4, v2
	v_lshlrev_b32_e32 v1, 2, v1
	global_load_dword v7, v1, s[2:3]
	v_mov_b32_e32 v1, v3
	v_and_b32_e32 v2, 0x3f8, v0
	v_lshlrev_b32_e32 v0, 7, v10
	v_lshlrev_b32_e32 v2, 2, v2
	v_lshl_add_u64 v[0:1], s[0:1], 0, v[0:1]
	v_lshl_add_u64 v[10:11], v[0:1], 0, v[2:3]
	s_waitcnt vmcnt(2)
	v_and_b32_sdwa v0, v12, v8 dst_sel:DWORD dst_unused:UNUSED_PAD src0_sel:DWORD src1_sel:WORD_1
	s_mov_b32 s2, 0x40008
	v_lshl_or_b32 v0, v9, 16, v0
	v_pk_lshrrev_b16 v0, s2, v0
	v_bfe_u32 v1, v8, 12, 4
	v_and_b32_e32 v0, 0xf0000f0, v0
	s_mov_b32 s3, 0xf000
	v_or_b32_e32 v1, v0, v1
	v_and_b32_sdwa v2, v9, s3 dst_sel:DWORD dst_unused:UNUSED_PAD src0_sel:WORD_1 src1_sel:DWORD
	v_or_b32_sdwa v0, v1, v0 dst_sel:DWORD dst_unused:UNUSED_PAD src0_sel:DWORD src1_sel:WORD_1
	v_or_b32_e32 v0, v0, v2
	s_waitcnt vmcnt(1)
	v_lshrrev_b32_e32 v3, v4, v5
	v_cvt_f32_f16_e32 v1, v0
	v_lshlrev_b32_e32 v3, 1, v3
	v_and_or_b32 v3, v3, 14, 1
	v_and_b32_e32 v4, 8, v6
	v_cvt_f32_ubyte0_e32 v2, v3
	v_cmp_eq_u32_e32 vcc, 0, v4
	v_mul_f32_e32 v6, v1, v2
	s_waitcnt vmcnt(0)
	v_and_b32_e32 v1, 0xf0f0f0f, v7
	v_bfe_u32 v2, v7, 8, 4
	v_and_b32_e32 v4, 15, v7
	v_bfe_u32 v8, v7, 16, 4
	v_cndmask_b32_e32 v0, v13, v14, vcc
	v_bfe_u32 v9, v7, 12, 4
	v_bfe_u32 v12, v7, 4, 4
	v_lshrrev_b32_e32 v13, 28, v7
	v_bfe_u32 v7, v7, 20, 4
	v_cvt_f32_ubyte0_e32 v3, v2
	v_cvt_f32_ubyte0_e32 v2, v4
	v_cvt_f32_ubyte3_e32 v5, v1
	v_cvt_f32_ubyte0_e32 v4, v8
	v_cvt_f32_ubyte0_e32 v9, v9
	;; [unrolled: 1-line block ×5, first 2 shown]
	v_pk_add_f32 v[2:3], v[0:1], v[2:3] op_sel_hi:[0,1]
	v_pk_add_f32 v[4:5], v[0:1], v[4:5] op_sel_hi:[0,1]
	;; [unrolled: 1-line block ×4, first 2 shown]
	v_pk_mul_f32 v[0:1], v[6:7], v[2:3] op_sel_hi:[0,1]
	v_pk_mul_f32 v[2:3], v[6:7], v[4:5] op_sel_hi:[0,1]
	;; [unrolled: 1-line block ×4, first 2 shown]
	global_store_dwordx4 v[10:11], v[0:3], off
	global_store_dwordx4 v[10:11], v[4:7], off offset:16
	s_endpgm
	.section	.rodata,"a",@progbits
	.p2align	6, 0x0
	.amdhsa_kernel _ZL22dequantize_block_iq1_mIfEvPKvPT_
		.amdhsa_group_segment_fixed_size 0
		.amdhsa_private_segment_fixed_size 0
		.amdhsa_kernarg_size 16
		.amdhsa_user_sgpr_count 2
		.amdhsa_user_sgpr_dispatch_ptr 0
		.amdhsa_user_sgpr_queue_ptr 0
		.amdhsa_user_sgpr_kernarg_segment_ptr 1
		.amdhsa_user_sgpr_dispatch_id 0
		.amdhsa_user_sgpr_kernarg_preload_length 0
		.amdhsa_user_sgpr_kernarg_preload_offset 0
		.amdhsa_user_sgpr_private_segment_size 0
		.amdhsa_uses_dynamic_stack 0
		.amdhsa_enable_private_segment 0
		.amdhsa_system_sgpr_workgroup_id_x 1
		.amdhsa_system_sgpr_workgroup_id_y 0
		.amdhsa_system_sgpr_workgroup_id_z 0
		.amdhsa_system_sgpr_workgroup_info 0
		.amdhsa_system_vgpr_workitem_id 0
		.amdhsa_next_free_vgpr 15
		.amdhsa_next_free_sgpr 8
		.amdhsa_accum_offset 16
		.amdhsa_reserve_vcc 1
		.amdhsa_float_round_mode_32 0
		.amdhsa_float_round_mode_16_64 0
		.amdhsa_float_denorm_mode_32 3
		.amdhsa_float_denorm_mode_16_64 3
		.amdhsa_dx10_clamp 1
		.amdhsa_ieee_mode 1
		.amdhsa_fp16_overflow 0
		.amdhsa_tg_split 0
		.amdhsa_exception_fp_ieee_invalid_op 0
		.amdhsa_exception_fp_denorm_src 0
		.amdhsa_exception_fp_ieee_div_zero 0
		.amdhsa_exception_fp_ieee_overflow 0
		.amdhsa_exception_fp_ieee_underflow 0
		.amdhsa_exception_fp_ieee_inexact 0
		.amdhsa_exception_int_div_zero 0
	.end_amdhsa_kernel
	.section	.text._ZL22dequantize_block_iq1_mIfEvPKvPT_,"axG",@progbits,_ZL22dequantize_block_iq1_mIfEvPKvPT_,comdat
.Lfunc_end32:
	.size	_ZL22dequantize_block_iq1_mIfEvPKvPT_, .Lfunc_end32-_ZL22dequantize_block_iq1_mIfEvPKvPT_
                                        ; -- End function
	.section	.AMDGPU.csdata,"",@progbits
; Kernel info:
; codeLenInByte = 592
; NumSgprs: 14
; NumVgprs: 15
; NumAgprs: 0
; TotalNumVgprs: 15
; ScratchSize: 0
; MemoryBound: 0
; FloatMode: 240
; IeeeMode: 1
; LDSByteSize: 0 bytes/workgroup (compile time only)
; SGPRBlocks: 1
; VGPRBlocks: 1
; NumSGPRsForWavesPerEU: 14
; NumVGPRsForWavesPerEU: 15
; AccumOffset: 16
; Occupancy: 8
; WaveLimiterHint : 0
; COMPUTE_PGM_RSRC2:SCRATCH_EN: 0
; COMPUTE_PGM_RSRC2:USER_SGPR: 2
; COMPUTE_PGM_RSRC2:TRAP_HANDLER: 0
; COMPUTE_PGM_RSRC2:TGID_X_EN: 1
; COMPUTE_PGM_RSRC2:TGID_Y_EN: 0
; COMPUTE_PGM_RSRC2:TGID_Z_EN: 0
; COMPUTE_PGM_RSRC2:TIDIG_COMP_CNT: 0
; COMPUTE_PGM_RSRC3_GFX90A:ACCUM_OFFSET: 3
; COMPUTE_PGM_RSRC3_GFX90A:TG_SPLIT: 0
	.section	.text._ZL23dequantize_block_iq4_nlIfEvPKvPT_,"axG",@progbits,_ZL23dequantize_block_iq4_nlIfEvPKvPT_,comdat
	.globl	_ZL23dequantize_block_iq4_nlIfEvPKvPT_ ; -- Begin function _ZL23dequantize_block_iq4_nlIfEvPKvPT_
	.p2align	8
	.type	_ZL23dequantize_block_iq4_nlIfEvPKvPT_,@function
_ZL23dequantize_block_iq4_nlIfEvPKvPT_: ; @_ZL23dequantize_block_iq4_nlIfEvPKvPT_
; %bb.0:
	s_load_dwordx4 s[4:7], s[0:1], 0x0
	s_mul_i32 s0, s2, 0x90
	s_mov_b32 s3, 0
	s_mul_hi_u32 s1, s2, 0x90
	v_and_b32_e32 v1, 7, v0
	s_waitcnt lgkmcnt(0)
	s_add_u32 s0, s4, s0
	s_addc_u32 s1, s5, s1
	s_lshl_b64 s[4:5], s[2:3], 10
	s_add_u32 s4, s6, s4
	s_addc_u32 s5, s7, s5
	v_lshlrev_b32_e32 v2, 7, v1
	v_mov_b32_e32 v3, 0
	v_lshrrev_b32_e32 v0, 1, v0
	v_lshl_add_u64 v[4:5], s[4:5], 0, v[2:3]
	v_and_b32_e32 v2, 0x1fc, v0
	v_mad_u64_u32 v[0:1], s[0:1], v1, 18, s[0:1]
	v_lshl_add_u64 v[6:7], v[0:1], 0, v[2:3]
	global_load_dword v9, v[6:7], off offset:2
	global_load_ushort v12, v[0:1], off
	v_mov_b32_e32 v0, 4
	s_getpc_b64 s[0:1]
	s_add_u32 s0, s0, _ZL13kvalues_iq4nl@rel32@lo+4
	s_addc_u32 s1, s1, _ZL13kvalues_iq4nl@rel32@hi+12
	v_lshlrev_b32_e32 v8, 2, v2
	v_mov_b32_e32 v1, s3
	v_mov_b32_e32 v7, s3
	s_waitcnt vmcnt(1)
	v_lshrrev_b32_e32 v6, 8, v9
	v_lshrrev_b16_e32 v10, 4, v9
	v_lshrrev_b16_sdwa v2, v0, v9 dst_sel:DWORD dst_unused:UNUSED_PAD src0_sel:DWORD src1_sel:BYTE_3
	v_and_b32_e32 v0, 15, v10
	v_lshrrev_b16_e32 v6, 4, v6
	v_and_b32_e32 v13, 15, v9
	v_lshl_add_u64 v[10:11], v[2:3], 0, s[0:1]
	v_and_b32_e32 v0, 0xffff, v0
	v_and_b32_e32 v2, 15, v6
	v_bfe_u32 v14, v9, 8, 4
	v_bfe_u32 v15, v9, 16, 4
	;; [unrolled: 1-line block ×4, first 2 shown]
	v_lshl_add_u64 v[0:1], v[0:1], 0, s[0:1]
	global_load_sbyte v18, v13, s[0:1]
	global_load_sbyte v19, v[0:1], off
	global_load_sbyte v20, v14, s[0:1]
	global_load_sbyte v21, v15, s[0:1]
	;; [unrolled: 1-line block ×4, first 2 shown]
	v_and_b32_e32 v6, 0xffff, v2
	v_lshl_add_u64 v[0:1], v[6:7], 0, s[0:1]
	global_load_sbyte v7, v[10:11], off
	global_load_sbyte v13, v[0:1], off
	v_mov_b32_e32 v9, v3
	v_lshl_add_u64 v[8:9], v[4:5], 0, v[8:9]
	s_waitcnt vmcnt(8)
	v_cvt_f32_f16_e32 v4, v12
	s_waitcnt vmcnt(7)
	v_cvt_f32_i32_e32 v0, v18
	s_waitcnt vmcnt(6)
	v_cvt_f32_i32_e32 v10, v19
	;; [unrolled: 2-line block ×6, first 2 shown]
	v_pk_mul_f32 v[0:1], v[4:5], v[0:1] op_sel_hi:[0,1]
	s_waitcnt vmcnt(1)
	v_cvt_f32_i32_e32 v7, v7
	s_waitcnt vmcnt(0)
	v_cvt_f32_i32_e32 v11, v13
	v_pk_mul_f32 v[2:3], v[4:5], v[2:3] op_sel_hi:[0,1]
	v_pk_mul_f32 v[6:7], v[4:5], v[6:7] op_sel_hi:[0,1]
	;; [unrolled: 1-line block ×3, first 2 shown]
	global_store_dwordx4 v[8:9], v[0:3], off
	global_store_dwordx4 v[8:9], v[4:7], off offset:64
	s_endpgm
	.section	.rodata,"a",@progbits
	.p2align	6, 0x0
	.amdhsa_kernel _ZL23dequantize_block_iq4_nlIfEvPKvPT_
		.amdhsa_group_segment_fixed_size 0
		.amdhsa_private_segment_fixed_size 0
		.amdhsa_kernarg_size 16
		.amdhsa_user_sgpr_count 2
		.amdhsa_user_sgpr_dispatch_ptr 0
		.amdhsa_user_sgpr_queue_ptr 0
		.amdhsa_user_sgpr_kernarg_segment_ptr 1
		.amdhsa_user_sgpr_dispatch_id 0
		.amdhsa_user_sgpr_kernarg_preload_length 0
		.amdhsa_user_sgpr_kernarg_preload_offset 0
		.amdhsa_user_sgpr_private_segment_size 0
		.amdhsa_uses_dynamic_stack 0
		.amdhsa_enable_private_segment 0
		.amdhsa_system_sgpr_workgroup_id_x 1
		.amdhsa_system_sgpr_workgroup_id_y 0
		.amdhsa_system_sgpr_workgroup_id_z 0
		.amdhsa_system_sgpr_workgroup_info 0
		.amdhsa_system_vgpr_workitem_id 0
		.amdhsa_next_free_vgpr 24
		.amdhsa_next_free_sgpr 8
		.amdhsa_accum_offset 24
		.amdhsa_reserve_vcc 0
		.amdhsa_float_round_mode_32 0
		.amdhsa_float_round_mode_16_64 0
		.amdhsa_float_denorm_mode_32 3
		.amdhsa_float_denorm_mode_16_64 3
		.amdhsa_dx10_clamp 1
		.amdhsa_ieee_mode 1
		.amdhsa_fp16_overflow 0
		.amdhsa_tg_split 0
		.amdhsa_exception_fp_ieee_invalid_op 0
		.amdhsa_exception_fp_denorm_src 0
		.amdhsa_exception_fp_ieee_div_zero 0
		.amdhsa_exception_fp_ieee_overflow 0
		.amdhsa_exception_fp_ieee_underflow 0
		.amdhsa_exception_fp_ieee_inexact 0
		.amdhsa_exception_int_div_zero 0
	.end_amdhsa_kernel
	.section	.text._ZL23dequantize_block_iq4_nlIfEvPKvPT_,"axG",@progbits,_ZL23dequantize_block_iq4_nlIfEvPKvPT_,comdat
.Lfunc_end33:
	.size	_ZL23dequantize_block_iq4_nlIfEvPKvPT_, .Lfunc_end33-_ZL23dequantize_block_iq4_nlIfEvPKvPT_
                                        ; -- End function
	.section	.AMDGPU.csdata,"",@progbits
; Kernel info:
; codeLenInByte = 460
; NumSgprs: 14
; NumVgprs: 24
; NumAgprs: 0
; TotalNumVgprs: 24
; ScratchSize: 0
; MemoryBound: 0
; FloatMode: 240
; IeeeMode: 1
; LDSByteSize: 0 bytes/workgroup (compile time only)
; SGPRBlocks: 1
; VGPRBlocks: 2
; NumSGPRsForWavesPerEU: 14
; NumVGPRsForWavesPerEU: 24
; AccumOffset: 24
; Occupancy: 8
; WaveLimiterHint : 0
; COMPUTE_PGM_RSRC2:SCRATCH_EN: 0
; COMPUTE_PGM_RSRC2:USER_SGPR: 2
; COMPUTE_PGM_RSRC2:TRAP_HANDLER: 0
; COMPUTE_PGM_RSRC2:TGID_X_EN: 1
; COMPUTE_PGM_RSRC2:TGID_Y_EN: 0
; COMPUTE_PGM_RSRC2:TGID_Z_EN: 0
; COMPUTE_PGM_RSRC2:TIDIG_COMP_CNT: 0
; COMPUTE_PGM_RSRC3_GFX90A:ACCUM_OFFSET: 5
; COMPUTE_PGM_RSRC3_GFX90A:TG_SPLIT: 0
	.section	.text._ZL23dequantize_block_iq4_xsIfEvPKvPT_,"axG",@progbits,_ZL23dequantize_block_iq4_xsIfEvPKvPT_,comdat
	.globl	_ZL23dequantize_block_iq4_xsIfEvPKvPT_ ; -- Begin function _ZL23dequantize_block_iq4_xsIfEvPKvPT_
	.p2align	8
	.type	_ZL23dequantize_block_iq4_xsIfEvPKvPT_,@function
_ZL23dequantize_block_iq4_xsIfEvPKvPT_: ; @_ZL23dequantize_block_iq4_xsIfEvPKvPT_
; %bb.0:
	s_load_dwordx4 s[4:7], s[0:1], 0x0
	s_mov_b32 s3, 0
	s_lshl_b64 s[0:1], s[2:3], 10
	v_and_b32_e32 v1, 7, v0
	v_lshlrev_b32_e32 v2, 7, v1
	s_waitcnt lgkmcnt(0)
	s_add_u32 s0, s6, s0
	s_addc_u32 s1, s7, s1
	v_mov_b32_e32 v3, 0
	v_lshl_add_u64 v[4:5], s[0:1], 0, v[2:3]
	s_mul_i32 s0, s2, 0x88
	s_mul_hi_u32 s1, s2, 0x88
	s_add_u32 s0, s4, s0
	v_lshrrev_b32_e32 v2, 1, v0
	s_addc_u32 s1, s5, s1
	v_lshlrev_b32_e32 v6, 4, v1
	v_mov_b32_e32 v7, v3
	v_and_b32_e32 v2, 0x1fc, v2
	v_lshl_add_u64 v[6:7], s[0:1], 0, v[6:7]
	v_lshl_add_u64 v[6:7], v[6:7], 0, v[2:3]
	global_load_dword v6, v[6:7], off offset:8
	v_bfe_u32 v7, v0, 1, 2
	global_load_dword v11, v3, s[0:1]
	global_load_ubyte v14, v7, s[0:1] offset:4
	v_mov_b32_e32 v8, 4
	v_lshlrev_b32_e32 v10, 2, v2
	s_getpc_b64 s[0:1]
	s_add_u32 s0, s0, _ZL13kvalues_iq4nl@rel32@lo+4
	s_addc_u32 s1, s1, _ZL13kvalues_iq4nl@rel32@hi+12
	v_mov_b32_e32 v7, s3
	v_mov_b32_e32 v9, s3
	v_lshlrev_b32_e32 v0, 2, v0
	v_lshlrev_b32_e32 v1, 1, v1
	v_and_b32_e32 v0, 4, v0
	s_waitcnt vmcnt(2)
	v_lshrrev_b32_e32 v12, 8, v6
	v_lshrrev_b16_e32 v13, 4, v6
	v_and_b32_e32 v15, 15, v6
	v_bfe_u32 v16, v6, 8, 4
	v_bfe_u32 v17, v6, 16, 4
	;; [unrolled: 1-line block ×4, first 2 shown]
	v_lshrrev_b16_sdwa v2, v8, v6 dst_sel:DWORD dst_unused:UNUSED_PAD src0_sel:DWORD src1_sel:BYTE_3
	v_and_b32_e32 v6, 15, v13
	v_lshrrev_b16_e32 v8, 4, v12
	v_lshl_add_u64 v[12:13], v[2:3], 0, s[0:1]
	v_and_b32_e32 v6, 0xffff, v6
	v_and_b32_e32 v2, 15, v8
	v_lshl_add_u64 v[6:7], v[6:7], 0, s[0:1]
	global_load_sbyte v20, v15, s[0:1]
	global_load_sbyte v21, v[6:7], off
	global_load_sbyte v22, v16, s[0:1]
	global_load_sbyte v23, v17, s[0:1]
	;; [unrolled: 1-line block ×4, first 2 shown]
	v_and_b32_e32 v8, 0xffff, v2
	v_lshl_add_u64 v[6:7], v[8:9], 0, s[0:1]
	global_load_sbyte v15, v[12:13], off
	global_load_sbyte v16, v[6:7], off
	s_waitcnt vmcnt(9)
	v_lshrrev_b32_sdwa v1, v1, v11 dst_sel:DWORD dst_unused:UNUSED_PAD src0_sel:DWORD src1_sel:WORD_1
	s_waitcnt vmcnt(8)
	v_bfe_u32 v0, v14, v0, 4
	v_lshlrev_b32_e32 v1, 4, v1
	v_and_or_b32 v0, v1, 48, v0
	v_subrev_u32_e32 v0, 32, v0
	v_cvt_f32_f16_e32 v2, v11
	v_cvt_f32_i32_e32 v0, v0
	v_mov_b32_e32 v11, v3
	v_lshl_add_u64 v[8:9], v[4:5], 0, v[10:11]
	v_mul_f32_e32 v4, v2, v0
	s_waitcnt vmcnt(7)
	v_cvt_f32_i32_e32 v0, v20
	s_waitcnt vmcnt(6)
	v_cvt_f32_i32_e32 v10, v21
	;; [unrolled: 2-line block ×6, first 2 shown]
	v_pk_mul_f32 v[0:1], v[4:5], v[0:1] op_sel_hi:[0,1]
	s_waitcnt vmcnt(1)
	v_cvt_f32_i32_e32 v7, v15
	s_waitcnt vmcnt(0)
	v_cvt_f32_i32_e32 v11, v16
	v_pk_mul_f32 v[2:3], v[4:5], v[2:3] op_sel_hi:[0,1]
	v_pk_mul_f32 v[6:7], v[4:5], v[6:7] op_sel_hi:[0,1]
	;; [unrolled: 1-line block ×3, first 2 shown]
	global_store_dwordx4 v[8:9], v[0:3], off
	global_store_dwordx4 v[8:9], v[4:7], off offset:64
	s_endpgm
	.section	.rodata,"a",@progbits
	.p2align	6, 0x0
	.amdhsa_kernel _ZL23dequantize_block_iq4_xsIfEvPKvPT_
		.amdhsa_group_segment_fixed_size 0
		.amdhsa_private_segment_fixed_size 0
		.amdhsa_kernarg_size 16
		.amdhsa_user_sgpr_count 2
		.amdhsa_user_sgpr_dispatch_ptr 0
		.amdhsa_user_sgpr_queue_ptr 0
		.amdhsa_user_sgpr_kernarg_segment_ptr 1
		.amdhsa_user_sgpr_dispatch_id 0
		.amdhsa_user_sgpr_kernarg_preload_length 0
		.amdhsa_user_sgpr_kernarg_preload_offset 0
		.amdhsa_user_sgpr_private_segment_size 0
		.amdhsa_uses_dynamic_stack 0
		.amdhsa_enable_private_segment 0
		.amdhsa_system_sgpr_workgroup_id_x 1
		.amdhsa_system_sgpr_workgroup_id_y 0
		.amdhsa_system_sgpr_workgroup_id_z 0
		.amdhsa_system_sgpr_workgroup_info 0
		.amdhsa_system_vgpr_workitem_id 0
		.amdhsa_next_free_vgpr 26
		.amdhsa_next_free_sgpr 8
		.amdhsa_accum_offset 28
		.amdhsa_reserve_vcc 0
		.amdhsa_float_round_mode_32 0
		.amdhsa_float_round_mode_16_64 0
		.amdhsa_float_denorm_mode_32 3
		.amdhsa_float_denorm_mode_16_64 3
		.amdhsa_dx10_clamp 1
		.amdhsa_ieee_mode 1
		.amdhsa_fp16_overflow 0
		.amdhsa_tg_split 0
		.amdhsa_exception_fp_ieee_invalid_op 0
		.amdhsa_exception_fp_denorm_src 0
		.amdhsa_exception_fp_ieee_div_zero 0
		.amdhsa_exception_fp_ieee_overflow 0
		.amdhsa_exception_fp_ieee_underflow 0
		.amdhsa_exception_fp_ieee_inexact 0
		.amdhsa_exception_int_div_zero 0
	.end_amdhsa_kernel
	.section	.text._ZL23dequantize_block_iq4_xsIfEvPKvPT_,"axG",@progbits,_ZL23dequantize_block_iq4_xsIfEvPKvPT_,comdat
.Lfunc_end34:
	.size	_ZL23dequantize_block_iq4_xsIfEvPKvPT_, .Lfunc_end34-_ZL23dequantize_block_iq4_xsIfEvPKvPT_
                                        ; -- End function
	.section	.AMDGPU.csdata,"",@progbits
; Kernel info:
; codeLenInByte = 540
; NumSgprs: 14
; NumVgprs: 26
; NumAgprs: 0
; TotalNumVgprs: 26
; ScratchSize: 0
; MemoryBound: 0
; FloatMode: 240
; IeeeMode: 1
; LDSByteSize: 0 bytes/workgroup (compile time only)
; SGPRBlocks: 1
; VGPRBlocks: 3
; NumSGPRsForWavesPerEU: 14
; NumVGPRsForWavesPerEU: 26
; AccumOffset: 28
; Occupancy: 8
; WaveLimiterHint : 0
; COMPUTE_PGM_RSRC2:SCRATCH_EN: 0
; COMPUTE_PGM_RSRC2:USER_SGPR: 2
; COMPUTE_PGM_RSRC2:TRAP_HANDLER: 0
; COMPUTE_PGM_RSRC2:TGID_X_EN: 1
; COMPUTE_PGM_RSRC2:TGID_Y_EN: 0
; COMPUTE_PGM_RSRC2:TGID_Z_EN: 0
; COMPUTE_PGM_RSRC2:TIDIG_COMP_CNT: 0
; COMPUTE_PGM_RSRC3_GFX90A:ACCUM_OFFSET: 6
; COMPUTE_PGM_RSRC3_GFX90A:TG_SPLIT: 0
	.section	.text._ZL22dequantize_block_iq3_sIfEvPKvPT_,"axG",@progbits,_ZL22dequantize_block_iq3_sIfEvPKvPT_,comdat
	.globl	_ZL22dequantize_block_iq3_sIfEvPKvPT_ ; -- Begin function _ZL22dequantize_block_iq3_sIfEvPKvPT_
	.p2align	8
	.type	_ZL22dequantize_block_iq3_sIfEvPKvPT_,@function
_ZL22dequantize_block_iq3_sIfEvPKvPT_:  ; @_ZL22dequantize_block_iq3_sIfEvPKvPT_
; %bb.0:
	s_load_dwordx4 s[4:7], s[0:1], 0x0
	s_mov_b32 s3, 0
	s_lshl_b64 s[0:1], s[2:3], 10
	v_mov_b32_e32 v3, 0
	v_and_b32_e32 v10, 7, v0
	s_waitcnt lgkmcnt(0)
	s_add_u32 s0, s6, s0
	s_addc_u32 s1, s7, s1
	s_mul_hi_u32 s3, s2, 0x6e
	s_mulk_i32 s2, 0x6e
	v_lshrrev_b32_e32 v2, 3, v0
	s_add_u32 s2, s4, s2
	v_lshlrev_b32_e32 v8, 2, v10
	v_mov_b32_e32 v9, v3
	s_addc_u32 s3, s5, s3
	v_lshlrev_b32_e32 v4, 3, v10
	v_mov_b32_e32 v5, v3
	v_lshl_add_u64 v[8:9], v[8:9], 0, v[2:3]
	v_lshl_add_u64 v[4:5], s[2:3], 0, v[4:5]
	v_lshlrev_b32_e32 v6, 1, v2
	v_mov_b32_e32 v7, v3
	v_bfe_u32 v1, v0, 1, 2
	v_lshl_add_u64 v[8:9], s[2:3], 0, v[8:9]
	v_lshl_add_u64 v[4:5], v[4:5], 0, v[6:7]
	global_load_ubyte v7, v1, s[2:3] offset:106
	global_load_sbyte v11, v[8:9], off offset:74
	s_nop 0
	global_load_ushort v1, v[4:5], off offset:2
	global_load_ubyte v2, v10, s[2:3] offset:66
	global_load_ushort v12, v3, s[2:3]
	v_sub_u32_e32 v4, 8, v6
	s_movk_i32 s4, 0x100
	v_sub_u32_e32 v5, 7, v6
	s_getpc_b64 s[2:3]
	s_add_u32 s2, s2, _ZL9iq3s_grid@rel32@lo+4
	s_addc_u32 s3, s3, _ZL9iq3s_grid@rel32@hi+12
	s_waitcnt vmcnt(3)
	v_and_b32_e32 v13, 8, v11
	s_waitcnt vmcnt(2)
	v_and_b32_e32 v6, 0xff, v1
	s_waitcnt vmcnt(1)
	v_lshlrev_b32_e32 v4, v4, v2
	v_lshrrev_b16_e32 v1, 8, v1
	v_lshlrev_b32_e32 v2, v5, v2
	v_and_or_b32 v4, v4, s4, v6
	v_and_or_b32 v1, v2, s4, v1
	v_lshlrev_b32_e32 v2, 2, v4
	v_lshlrev_b32_e32 v1, 2, v1
	global_load_dword v4, v2, s[2:3]
	global_load_dword v5, v1, s[2:3]
	v_mov_b32_e32 v1, v3
	v_and_b32_e32 v2, 0x3f8, v0
	v_lshlrev_b32_e32 v6, 2, v0
	v_lshlrev_b32_e32 v0, 7, v10
	;; [unrolled: 1-line block ×3, first 2 shown]
	v_and_b32_e32 v6, 4, v6
	v_lshl_add_u64 v[0:1], s[0:1], 0, v[0:1]
	v_lshl_add_u64 v[8:9], v[0:1], 0, v[2:3]
	s_waitcnt vmcnt(2)
	v_cvt_f32_f16_e32 v0, v12
	v_lshrrev_b32_e32 v1, v6, v7
	v_lshlrev_b32_e32 v1, 1, v1
	v_and_or_b32 v1, v1, 30, 1
	v_cvt_f32_ubyte0_e32 v1, v1
	v_and_b32_e32 v2, 1, v11
	v_mul_f32_e32 v0, v0, v1
	v_and_b32_e32 v3, 16, v11
	v_cmp_eq_u16_e32 vcc, 0, v2
	v_and_b32_e32 v6, 2, v11
	v_and_b32_e32 v7, 32, v11
	;; [unrolled: 1-line block ×4, first 2 shown]
	s_waitcnt vmcnt(1)
	v_cvt_f32_ubyte0_e32 v1, v4
	s_waitcnt vmcnt(0)
	v_cvt_f32_ubyte0_e32 v14, v5
	v_cvt_f32_ubyte1_e32 v15, v4
	v_cvt_f32_ubyte1_e32 v16, v5
	v_cvt_f32_ubyte2_e32 v17, v4
	v_cvt_f32_ubyte2_e32 v18, v5
	v_cvt_f32_ubyte3_e32 v4, v4
	v_cvt_f32_ubyte3_e32 v5, v5
	v_mul_f32_e32 v1, v0, v1
	v_mul_f32_e32 v14, v0, v14
	v_mul_f32_e32 v15, v0, v15
	v_mul_f32_e32 v16, v0, v16
	v_mul_f32_e32 v17, v0, v17
	v_mul_f32_e32 v18, v0, v18
	v_mul_f32_e32 v19, v0, v4
	v_mul_f32_e32 v20, v0, v5
	v_cndmask_b32_e64 v0, -v1, v1, vcc
	v_cmp_eq_u16_e32 vcc, 0, v3
	s_nop 1
	v_cndmask_b32_e64 v4, -v14, v14, vcc
	v_cmp_eq_u16_e32 vcc, 0, v6
	s_nop 1
	;; [unrolled: 3-line block ×6, first 2 shown]
	v_cndmask_b32_e64 v3, -v19, v19, vcc
	v_cmp_gt_i16_e32 vcc, 0, v11
	s_nop 1
	v_cndmask_b32_e64 v7, v20, -v20, vcc
	global_store_dwordx4 v[8:9], v[0:3], off
	global_store_dwordx4 v[8:9], v[4:7], off offset:16
	s_endpgm
	.section	.rodata,"a",@progbits
	.p2align	6, 0x0
	.amdhsa_kernel _ZL22dequantize_block_iq3_sIfEvPKvPT_
		.amdhsa_group_segment_fixed_size 0
		.amdhsa_private_segment_fixed_size 0
		.amdhsa_kernarg_size 16
		.amdhsa_user_sgpr_count 2
		.amdhsa_user_sgpr_dispatch_ptr 0
		.amdhsa_user_sgpr_queue_ptr 0
		.amdhsa_user_sgpr_kernarg_segment_ptr 1
		.amdhsa_user_sgpr_dispatch_id 0
		.amdhsa_user_sgpr_kernarg_preload_length 0
		.amdhsa_user_sgpr_kernarg_preload_offset 0
		.amdhsa_user_sgpr_private_segment_size 0
		.amdhsa_uses_dynamic_stack 0
		.amdhsa_enable_private_segment 0
		.amdhsa_system_sgpr_workgroup_id_x 1
		.amdhsa_system_sgpr_workgroup_id_y 0
		.amdhsa_system_sgpr_workgroup_id_z 0
		.amdhsa_system_sgpr_workgroup_info 0
		.amdhsa_system_vgpr_workitem_id 0
		.amdhsa_next_free_vgpr 21
		.amdhsa_next_free_sgpr 8
		.amdhsa_accum_offset 24
		.amdhsa_reserve_vcc 1
		.amdhsa_float_round_mode_32 0
		.amdhsa_float_round_mode_16_64 0
		.amdhsa_float_denorm_mode_32 3
		.amdhsa_float_denorm_mode_16_64 3
		.amdhsa_dx10_clamp 1
		.amdhsa_ieee_mode 1
		.amdhsa_fp16_overflow 0
		.amdhsa_tg_split 0
		.amdhsa_exception_fp_ieee_invalid_op 0
		.amdhsa_exception_fp_denorm_src 0
		.amdhsa_exception_fp_ieee_div_zero 0
		.amdhsa_exception_fp_ieee_overflow 0
		.amdhsa_exception_fp_ieee_underflow 0
		.amdhsa_exception_fp_ieee_inexact 0
		.amdhsa_exception_int_div_zero 0
	.end_amdhsa_kernel
	.section	.text._ZL22dequantize_block_iq3_sIfEvPKvPT_,"axG",@progbits,_ZL22dequantize_block_iq3_sIfEvPKvPT_,comdat
.Lfunc_end35:
	.size	_ZL22dequantize_block_iq3_sIfEvPKvPT_, .Lfunc_end35-_ZL22dequantize_block_iq3_sIfEvPKvPT_
                                        ; -- End function
	.section	.AMDGPU.csdata,"",@progbits
; Kernel info:
; codeLenInByte = 592
; NumSgprs: 14
; NumVgprs: 21
; NumAgprs: 0
; TotalNumVgprs: 21
; ScratchSize: 0
; MemoryBound: 0
; FloatMode: 240
; IeeeMode: 1
; LDSByteSize: 0 bytes/workgroup (compile time only)
; SGPRBlocks: 1
; VGPRBlocks: 2
; NumSGPRsForWavesPerEU: 14
; NumVGPRsForWavesPerEU: 21
; AccumOffset: 24
; Occupancy: 8
; WaveLimiterHint : 0
; COMPUTE_PGM_RSRC2:SCRATCH_EN: 0
; COMPUTE_PGM_RSRC2:USER_SGPR: 2
; COMPUTE_PGM_RSRC2:TRAP_HANDLER: 0
; COMPUTE_PGM_RSRC2:TGID_X_EN: 1
; COMPUTE_PGM_RSRC2:TGID_Y_EN: 0
; COMPUTE_PGM_RSRC2:TGID_Z_EN: 0
; COMPUTE_PGM_RSRC2:TIDIG_COMP_CNT: 0
; COMPUTE_PGM_RSRC3_GFX90A:ACCUM_OFFSET: 5
; COMPUTE_PGM_RSRC3_GFX90A:TG_SPLIT: 0
	.section	.text._ZL22dequantize_block_mxfp4IfEvPKvPT_,"axG",@progbits,_ZL22dequantize_block_mxfp4IfEvPKvPT_,comdat
	.globl	_ZL22dequantize_block_mxfp4IfEvPKvPT_ ; -- Begin function _ZL22dequantize_block_mxfp4IfEvPKvPT_
	.p2align	8
	.type	_ZL22dequantize_block_mxfp4IfEvPKvPT_,@function
_ZL22dequantize_block_mxfp4IfEvPKvPT_:  ; @_ZL22dequantize_block_mxfp4IfEvPKvPT_
; %bb.0:
	s_load_dwordx4 s[4:7], s[0:1], 0x0
	s_mul_i32 s0, s2, 0x88
	s_mov_b32 s3, 0
	s_mul_hi_u32 s1, s2, 0x88
	v_and_b32_e32 v1, 7, v0
	s_waitcnt lgkmcnt(0)
	s_add_u32 s0, s4, s0
	s_addc_u32 s1, s5, s1
	s_lshl_b64 s[4:5], s[2:3], 10
	s_add_u32 s4, s6, s4
	s_addc_u32 s5, s7, s5
	v_lshlrev_b32_e32 v2, 7, v1
	v_mov_b32_e32 v3, 0
	v_lshrrev_b32_e32 v0, 1, v0
	v_lshl_add_u64 v[4:5], s[4:5], 0, v[2:3]
	v_and_b32_e32 v2, 0x1fc, v0
	v_mad_u64_u32 v[0:1], s[0:1], v1, 17, s[0:1]
	v_lshl_add_u64 v[6:7], v[0:1], 0, v[2:3]
	global_load_dword v9, v[6:7], off offset:1
	global_load_ubyte v10, v[0:1], off
	v_mov_b32_e32 v11, 4
	v_mov_b32_e32 v1, s3
	;; [unrolled: 1-line block ×3, first 2 shown]
	s_getpc_b64 s[0:1]
	s_add_u32 s0, s0, _ZL13kvalues_mxfp4@rel32@lo+4
	s_addc_u32 s1, s1, _ZL13kvalues_mxfp4@rel32@hi+12
	v_lshlrev_b32_e32 v8, 2, v2
	s_waitcnt vmcnt(1)
	v_lshrrev_b32_e32 v0, 8, v9
	v_lshrrev_b16_e32 v6, 4, v9
	v_and_b32_e32 v6, 15, v6
	v_lshrrev_b16_e32 v16, 4, v0
	v_and_b32_e32 v0, 0xffff, v6
	v_and_b32_e32 v6, 15, v16
	;; [unrolled: 1-line block ×4, first 2 shown]
	v_bfe_u32 v12, v9, 8, 4
	v_bfe_u32 v13, v9, 16, 4
	;; [unrolled: 1-line block ×4, first 2 shown]
	v_lshl_add_u64 v[0:1], v[0:1], 0, s[0:1]
	v_lshl_add_u64 v[6:7], v[6:7], 0, s[0:1]
	global_load_sbyte v16, v2, s[0:1]
	global_load_sbyte v17, v[0:1], off
	global_load_sbyte v18, v12, s[0:1]
	global_load_sbyte v19, v[6:7], off
	global_load_sbyte v20, v13, s[0:1]
	global_load_sbyte v21, v14, s[0:1]
	;; [unrolled: 1-line block ×3, first 2 shown]
	v_lshrrev_b16_sdwa v2, v11, v9 dst_sel:DWORD dst_unused:UNUSED_PAD src0_sel:DWORD src1_sel:BYTE_3
	v_lshl_add_u64 v[0:1], v[2:3], 0, s[0:1]
	global_load_sbyte v11, v[0:1], off
	v_mov_b32_e32 v0, 0x400000
	s_waitcnt vmcnt(8)
	v_lshlrev_b32_e32 v1, 23, v10
	v_cmp_ne_u32_e32 vcc, 0, v10
	v_mov_b32_e32 v9, v3
	v_lshl_add_u64 v[8:9], v[4:5], 0, v[8:9]
	v_cndmask_b32_e32 v2, v0, v1, vcc
	s_waitcnt vmcnt(7)
	v_cvt_f32_i32_e32 v0, v16
	s_waitcnt vmcnt(6)
	v_cvt_f32_i32_e32 v4, v17
	;; [unrolled: 2-line block ×7, first 2 shown]
	v_pk_mul_f32 v[0:1], v[2:3], v[0:1] op_sel_hi:[0,1]
	v_pk_mul_f32 v[0:1], v[0:1], 0.5 op_sel_hi:[1,0]
	s_waitcnt vmcnt(0)
	v_cvt_f32_i32_e32 v11, v11
	v_pk_mul_f32 v[6:7], v[2:3], v[6:7] op_sel_hi:[0,1]
	v_pk_mul_f32 v[4:5], v[2:3], v[4:5] op_sel_hi:[0,1]
	v_pk_mul_f32 v[4:5], v[4:5], 0.5 op_sel_hi:[1,0]
	v_pk_mul_f32 v[10:11], v[2:3], v[10:11] op_sel_hi:[0,1]
	v_pk_mul_f32 v[2:3], v[6:7], 0.5 op_sel_hi:[1,0]
	v_pk_mul_f32 v[6:7], v[10:11], 0.5 op_sel_hi:[1,0]
	global_store_dwordx4 v[8:9], v[0:3], off
	global_store_dwordx4 v[8:9], v[4:7], off offset:64
	s_endpgm
	.section	.rodata,"a",@progbits
	.p2align	6, 0x0
	.amdhsa_kernel _ZL22dequantize_block_mxfp4IfEvPKvPT_
		.amdhsa_group_segment_fixed_size 0
		.amdhsa_private_segment_fixed_size 0
		.amdhsa_kernarg_size 16
		.amdhsa_user_sgpr_count 2
		.amdhsa_user_sgpr_dispatch_ptr 0
		.amdhsa_user_sgpr_queue_ptr 0
		.amdhsa_user_sgpr_kernarg_segment_ptr 1
		.amdhsa_user_sgpr_dispatch_id 0
		.amdhsa_user_sgpr_kernarg_preload_length 0
		.amdhsa_user_sgpr_kernarg_preload_offset 0
		.amdhsa_user_sgpr_private_segment_size 0
		.amdhsa_uses_dynamic_stack 0
		.amdhsa_enable_private_segment 0
		.amdhsa_system_sgpr_workgroup_id_x 1
		.amdhsa_system_sgpr_workgroup_id_y 0
		.amdhsa_system_sgpr_workgroup_id_z 0
		.amdhsa_system_sgpr_workgroup_info 0
		.amdhsa_system_vgpr_workitem_id 0
		.amdhsa_next_free_vgpr 23
		.amdhsa_next_free_sgpr 8
		.amdhsa_accum_offset 24
		.amdhsa_reserve_vcc 1
		.amdhsa_float_round_mode_32 0
		.amdhsa_float_round_mode_16_64 0
		.amdhsa_float_denorm_mode_32 3
		.amdhsa_float_denorm_mode_16_64 3
		.amdhsa_dx10_clamp 1
		.amdhsa_ieee_mode 1
		.amdhsa_fp16_overflow 0
		.amdhsa_tg_split 0
		.amdhsa_exception_fp_ieee_invalid_op 0
		.amdhsa_exception_fp_denorm_src 0
		.amdhsa_exception_fp_ieee_div_zero 0
		.amdhsa_exception_fp_ieee_overflow 0
		.amdhsa_exception_fp_ieee_underflow 0
		.amdhsa_exception_fp_ieee_inexact 0
		.amdhsa_exception_int_div_zero 0
	.end_amdhsa_kernel
	.section	.text._ZL22dequantize_block_mxfp4IfEvPKvPT_,"axG",@progbits,_ZL22dequantize_block_mxfp4IfEvPKvPT_,comdat
.Lfunc_end36:
	.size	_ZL22dequantize_block_mxfp4IfEvPKvPT_, .Lfunc_end36-_ZL22dequantize_block_mxfp4IfEvPKvPT_
                                        ; -- End function
	.section	.AMDGPU.csdata,"",@progbits
; Kernel info:
; codeLenInByte = 508
; NumSgprs: 14
; NumVgprs: 23
; NumAgprs: 0
; TotalNumVgprs: 23
; ScratchSize: 0
; MemoryBound: 0
; FloatMode: 240
; IeeeMode: 1
; LDSByteSize: 0 bytes/workgroup (compile time only)
; SGPRBlocks: 1
; VGPRBlocks: 2
; NumSGPRsForWavesPerEU: 14
; NumVGPRsForWavesPerEU: 23
; AccumOffset: 24
; Occupancy: 8
; WaveLimiterHint : 0
; COMPUTE_PGM_RSRC2:SCRATCH_EN: 0
; COMPUTE_PGM_RSRC2:USER_SGPR: 2
; COMPUTE_PGM_RSRC2:TRAP_HANDLER: 0
; COMPUTE_PGM_RSRC2:TGID_X_EN: 1
; COMPUTE_PGM_RSRC2:TGID_Y_EN: 0
; COMPUTE_PGM_RSRC2:TGID_Z_EN: 0
; COMPUTE_PGM_RSRC2:TIDIG_COMP_CNT: 0
; COMPUTE_PGM_RSRC3_GFX90A:ACCUM_OFFSET: 5
; COMPUTE_PGM_RSRC3_GFX90A:TG_SPLIT: 0
	.section	.text._ZL22dequantize_block_nvfp4IfEvPKvPT_l,"axG",@progbits,_ZL22dequantize_block_nvfp4IfEvPKvPT_l,comdat
	.globl	_ZL22dequantize_block_nvfp4IfEvPKvPT_l ; -- Begin function _ZL22dequantize_block_nvfp4IfEvPKvPT_l
	.p2align	8
	.type	_ZL22dequantize_block_nvfp4IfEvPKvPT_l,@function
_ZL22dequantize_block_nvfp4IfEvPKvPT_l: ; @_ZL22dequantize_block_nvfp4IfEvPKvPT_l
; %bb.0:
	s_load_dwordx2 s[4:5], s[0:1], 0x10
	s_mov_b32 s3, 0
	s_lshl_b64 s[8:9], s[2:3], 6
	s_waitcnt lgkmcnt(0)
	v_mov_b64_e32 v[2:3], s[4:5]
	v_cmp_ge_i64_e32 vcc, s[8:9], v[2:3]
	s_cbranch_vccnz .LBB37_2
; %bb.1:
	s_load_dwordx4 s[4:7], s[0:1], 0x0
	s_mul_i32 s0, s2, 36
	s_mul_hi_u32 s1, s2, 36
	v_lshrrev_b32_e32 v2, 3, v0
	s_waitcnt lgkmcnt(0)
	s_add_u32 s0, s4, s0
	s_addc_u32 s1, s5, s1
	global_load_ubyte v1, v0, s[0:1] offset:4
	global_load_ubyte v4, v2, s[0:1]
	s_getpc_b64 s[0:1]
	s_add_u32 s0, s0, _ZL13kvalues_mxfp4@rel32@lo+4
	s_addc_u32 s1, s1, _ZL13kvalues_mxfp4@rel32@hi+12
	v_lshlrev_b32_e32 v2, 4, v2
	s_waitcnt vmcnt(1)
	v_and_b32_e32 v3, 15, v1
	v_lshrrev_b32_e32 v1, 4, v1
	global_load_sbyte v5, v3, s[0:1]
	global_load_sbyte v6, v1, s[0:1]
	v_mov_b32_e32 v3, 0
	v_lshl_add_u64 v[2:3], s[8:9], 0, v[2:3]
	s_movk_i32 s0, 0x7f
	v_and_or_b32 v2, v0, 7, v2
	s_waitcnt vmcnt(2)
	v_and_b32_e32 v0, 0x7f, v4
	v_cmp_ne_u16_e32 vcc, s0, v0
	s_waitcnt vmcnt(1)
	v_cvt_f32_i32_e32 v5, v5
	v_cndmask_b32_e32 v0, 0, v4, vcc
	v_and_b32_e32 v0, 0xffff, v0
	v_cvt_f32_fp8_sdwa v4, v0 src0_sel:BYTE_0
	s_waitcnt vmcnt(0)
	v_cvt_f32_i32_e32 v6, v6
	v_lshl_add_u64 v[0:1], v[2:3], 2, s[6:7]
	v_mul_f32_e32 v2, 0.5, v4
	v_mul_f32_e32 v3, v2, v5
	v_mul_f32_e32 v2, v2, v6
	global_store_dword v[0:1], v3, off
	global_store_dword v[0:1], v2, off offset:32
.LBB37_2:
	s_endpgm
	.section	.rodata,"a",@progbits
	.p2align	6, 0x0
	.amdhsa_kernel _ZL22dequantize_block_nvfp4IfEvPKvPT_l
		.amdhsa_group_segment_fixed_size 0
		.amdhsa_private_segment_fixed_size 0
		.amdhsa_kernarg_size 24
		.amdhsa_user_sgpr_count 2
		.amdhsa_user_sgpr_dispatch_ptr 0
		.amdhsa_user_sgpr_queue_ptr 0
		.amdhsa_user_sgpr_kernarg_segment_ptr 1
		.amdhsa_user_sgpr_dispatch_id 0
		.amdhsa_user_sgpr_kernarg_preload_length 0
		.amdhsa_user_sgpr_kernarg_preload_offset 0
		.amdhsa_user_sgpr_private_segment_size 0
		.amdhsa_uses_dynamic_stack 0
		.amdhsa_enable_private_segment 0
		.amdhsa_system_sgpr_workgroup_id_x 1
		.amdhsa_system_sgpr_workgroup_id_y 0
		.amdhsa_system_sgpr_workgroup_id_z 0
		.amdhsa_system_sgpr_workgroup_info 0
		.amdhsa_system_vgpr_workitem_id 0
		.amdhsa_next_free_vgpr 7
		.amdhsa_next_free_sgpr 10
		.amdhsa_accum_offset 8
		.amdhsa_reserve_vcc 1
		.amdhsa_float_round_mode_32 0
		.amdhsa_float_round_mode_16_64 0
		.amdhsa_float_denorm_mode_32 3
		.amdhsa_float_denorm_mode_16_64 3
		.amdhsa_dx10_clamp 1
		.amdhsa_ieee_mode 1
		.amdhsa_fp16_overflow 0
		.amdhsa_tg_split 0
		.amdhsa_exception_fp_ieee_invalid_op 0
		.amdhsa_exception_fp_denorm_src 0
		.amdhsa_exception_fp_ieee_div_zero 0
		.amdhsa_exception_fp_ieee_overflow 0
		.amdhsa_exception_fp_ieee_underflow 0
		.amdhsa_exception_fp_ieee_inexact 0
		.amdhsa_exception_int_div_zero 0
	.end_amdhsa_kernel
	.section	.text._ZL22dequantize_block_nvfp4IfEvPKvPT_l,"axG",@progbits,_ZL22dequantize_block_nvfp4IfEvPKvPT_l,comdat
.Lfunc_end37:
	.size	_ZL22dequantize_block_nvfp4IfEvPKvPT_l, .Lfunc_end37-_ZL22dequantize_block_nvfp4IfEvPKvPT_l
                                        ; -- End function
	.section	.AMDGPU.csdata,"",@progbits
; Kernel info:
; codeLenInByte = 248
; NumSgprs: 16
; NumVgprs: 7
; NumAgprs: 0
; TotalNumVgprs: 7
; ScratchSize: 0
; MemoryBound: 0
; FloatMode: 240
; IeeeMode: 1
; LDSByteSize: 0 bytes/workgroup (compile time only)
; SGPRBlocks: 1
; VGPRBlocks: 0
; NumSGPRsForWavesPerEU: 16
; NumVGPRsForWavesPerEU: 7
; AccumOffset: 8
; Occupancy: 8
; WaveLimiterHint : 0
; COMPUTE_PGM_RSRC2:SCRATCH_EN: 0
; COMPUTE_PGM_RSRC2:USER_SGPR: 2
; COMPUTE_PGM_RSRC2:TRAP_HANDLER: 0
; COMPUTE_PGM_RSRC2:TGID_X_EN: 1
; COMPUTE_PGM_RSRC2:TGID_Y_EN: 0
; COMPUTE_PGM_RSRC2:TGID_Z_EN: 0
; COMPUTE_PGM_RSRC2:TIDIG_COMP_CNT: 0
; COMPUTE_PGM_RSRC3_GFX90A:ACCUM_OFFSET: 1
; COMPUTE_PGM_RSRC3_GFX90A:TG_SPLIT: 0
	.section	.text._ZL13convert_unaryIf6__halfEvPKvPT0_lll15HIP_vector_typeIjLj3EElll,"axG",@progbits,_ZL13convert_unaryIf6__halfEvPKvPT0_lll15HIP_vector_typeIjLj3EElll,comdat
	.globl	_ZL13convert_unaryIf6__halfEvPKvPT0_lll15HIP_vector_typeIjLj3EElll ; -- Begin function _ZL13convert_unaryIf6__halfEvPKvPT0_lll15HIP_vector_typeIjLj3EElll
	.p2align	8
	.type	_ZL13convert_unaryIf6__halfEvPKvPT0_lll15HIP_vector_typeIjLj3EElll,@function
_ZL13convert_unaryIf6__halfEvPKvPT0_lll15HIP_vector_typeIjLj3EElll: ; @_ZL13convert_unaryIf6__halfEvPKvPT0_lll15HIP_vector_typeIjLj3EElll
; %bb.0:
	s_mov_b32 s6, s3
	s_load_dword s3, s[0:1], 0x5c
	s_load_dwordx4 s[16:19], s[0:1], 0x10
	s_add_u32 s24, s0, 0x50
	s_addc_u32 s25, s1, 0
	v_mov_b32_e32 v1, 0
	s_waitcnt lgkmcnt(0)
	s_and_b32 s3, s3, 0xffff
	v_mov_b32_e32 v2, s2
	v_mad_u64_u32 v[0:1], s[2:3], s3, v2, v[0:1]
	v_cmp_gt_i64_e32 vcc, s[16:17], v[0:1]
	s_and_saveexec_b64 s[2:3], vcc
	s_cbranch_execz .LBB38_16
; %bb.1:
	s_load_dwordx2 s[26:27], s[0:1], 0x20
	s_mov_b32 s7, 0
	v_mov_b64_e32 v[2:3], s[18:19]
	v_cmp_ge_i64_e32 vcc, s[6:7], v[2:3]
	s_cbranch_vccnz .LBB38_16
; %bb.2:
	s_load_dwordx4 s[20:23], s[0:1], 0x0
	s_load_dwordx8 s[8:15], s[0:1], 0x28
	s_load_dwordx2 s[28:29], s[0:1], 0x48
	s_waitcnt lgkmcnt(0)
	s_load_dword s11, s[24:25], 0x4
	s_mul_i32 s0, s18, s17
	s_mul_hi_u32 s1, s18, s16
	s_add_i32 s0, s1, s0
	s_mul_i32 s1, s19, s16
	s_mov_b32 s5, s7
	v_mov_b64_e32 v[4:5], s[26:27]
	s_add_i32 s1, s0, s1
	s_mul_i32 s0, s18, s16
	v_lshl_add_u64 v[2:3], v[0:1], 1, s[22:23]
	s_mov_b32 s33, s4
	s_mov_b32 s42, s7
	s_mov_b32 s43, s8
	s_mov_b32 s44, s8
	s_mov_b32 s45, s9
	s_mov_b32 s46, s9
	s_mov_b32 s47, s10
	s_mov_b32 s48, s28
	s_mov_b32 s49, s29
	s_mov_b32 s50, s14
	s_mov_b32 s51, s15
	s_mov_b32 s52, s14
	s_mov_b32 s53, s15
	s_mov_b32 s54, s18
	s_mov_b32 s55, s19
	s_mov_b32 s56, s18
	s_mov_b32 s57, s19
	s_mov_b32 s58, s16
	s_mov_b32 s59, s17
	s_mov_b32 s60, s16
	s_mov_b32 s61, s17
	s_lshl_b64 s[22:23], s[16:17], 1
	s_lshl_b64 s[16:17], s[0:1], 1
	s_sub_i32 s62, 0, s10
	v_cmp_lt_i64_e64 s[0:1], s[4:5], v[4:5]
	v_lshlrev_b64 v[4:5], 2, v[0:1]
	v_mov_b64_e32 v[6:7], s[18:19]
	v_mov_b32_e32 v12, 0x4f800000
	v_mov_b64_e32 v[8:9], s[26:27]
	s_mov_b64 s[30:31], s[6:7]
	s_branch .LBB38_4
.LBB38_3:                               ;   in Loop: Header=BB38_4 Depth=1
	s_waitcnt lgkmcnt(0)
	s_add_u32 s30, s30, s11
	s_addc_u32 s31, s31, 0
	v_cmp_ge_i64_e32 vcc, s[30:31], v[6:7]
	s_cbranch_vccnz .LBB38_16
.LBB38_4:                               ; =>This Loop Header: Depth=1
                                        ;     Child Loop BB38_10 Depth 2
                                        ;     Child Loop BB38_14 Depth 2
	s_andn2_b64 vcc, exec, s[0:1]
	s_cbranch_vccnz .LBB38_3
; %bb.5:                                ;   in Loop: Header=BB38_4 Depth=1
	s_load_dword s6, s[24:25], 0x8
	v_mov_b64_e32 v[10:11], s[26:27]
	s_waitcnt lgkmcnt(0)
	s_add_u32 s34, s4, s6
	s_addc_u32 s35, 0, 0
	v_mov_b64_e32 v[14:15], s[34:35]
	v_cmp_lt_i64_e64 s[2:3], s[34:35], v[10:11]
	v_cmp_gt_i64_e32 vcc, s[26:27], v[14:15]
	s_and_b64 s[36:37], vcc, exec
	v_cndmask_b32_e64 v10, 0, 1, s[2:3]
	s_cselect_b32 s37, s26, s34
	v_readfirstlane_b32 s38, v10
	s_cselect_b32 s36, s27, s35
	s_sub_u32 s37, s37, s38
	s_subb_u32 s36, s36, 0
	s_sub_u32 s38, s37, s34
	s_subb_u32 s35, s36, s35
	s_mov_b32 s34, s7
	s_cmp_lg_u64 s[34:35], 0
	s_cbranch_scc0 .LBB38_15
; %bb.6:                                ;   in Loop: Header=BB38_4 Depth=1
	v_cvt_f32_u32_e32 v10, s6
	s_sub_u32 s34, 0, s6
	s_subb_u32 s36, 0, 0
	v_fmac_f32_e32 v10, 0, v12
	v_rcp_f32_e32 v10, v10
	s_nop 0
	v_mul_f32_e32 v10, 0x5f7ffffc, v10
	v_mul_f32_e32 v11, 0x2f800000, v10
	v_trunc_f32_e32 v11, v11
	v_fmac_f32_e32 v10, 0xcf800000, v11
	v_cvt_u32_f32_e32 v11, v11
	v_cvt_u32_f32_e32 v10, v10
	v_readfirstlane_b32 s37, v11
	v_readfirstlane_b32 s39, v10
	s_mul_i32 s40, s34, s37
	s_mul_hi_u32 s63, s34, s39
	s_mul_i32 s41, s36, s39
	s_add_i32 s40, s63, s40
	s_mul_i32 s64, s34, s39
	s_add_i32 s40, s40, s41
	s_mul_hi_u32 s63, s39, s64
	s_mul_hi_u32 s41, s39, s40
	s_mul_i32 s39, s39, s40
	s_add_u32 s39, s63, s39
	s_addc_u32 s41, 0, s41
	s_mul_hi_u32 s65, s37, s64
	s_mul_i32 s64, s37, s64
	s_add_u32 s39, s39, s64
	s_mul_hi_u32 s63, s37, s40
	s_addc_u32 s39, s41, s65
	s_addc_u32 s41, s63, 0
	s_mul_i32 s40, s37, s40
	s_add_u32 s39, s39, s40
	s_addc_u32 s40, 0, s41
	v_add_co_u32_e32 v10, vcc, s39, v10
	s_cmp_lg_u64 vcc, 0
	s_addc_u32 s37, s37, s40
	v_readfirstlane_b32 s40, v10
	s_mul_i32 s39, s34, s37
	s_mul_hi_u32 s41, s34, s40
	s_add_i32 s39, s41, s39
	s_mul_i32 s36, s36, s40
	s_add_i32 s39, s39, s36
	s_mul_i32 s34, s34, s40
	s_mul_hi_u32 s41, s37, s34
	s_mul_i32 s63, s37, s34
	s_mul_i32 s65, s40, s39
	s_mul_hi_u32 s34, s40, s34
	s_mul_hi_u32 s64, s40, s39
	s_add_u32 s34, s34, s65
	s_addc_u32 s40, 0, s64
	s_add_u32 s34, s34, s63
	s_mul_hi_u32 s36, s37, s39
	s_addc_u32 s34, s40, s41
	s_addc_u32 s36, s36, 0
	s_mul_i32 s39, s37, s39
	s_add_u32 s34, s34, s39
	s_addc_u32 s36, 0, s36
	v_add_co_u32_e32 v10, vcc, s34, v10
	s_cmp_lg_u64 vcc, 0
	s_addc_u32 s34, s37, s36
	v_readfirstlane_b32 s39, v10
	s_mul_i32 s37, s38, s34
	s_mul_hi_u32 s40, s38, s39
	s_mul_hi_u32 s36, s38, s34
	s_add_u32 s37, s40, s37
	s_addc_u32 s36, 0, s36
	s_mul_hi_u32 s41, s35, s39
	s_mul_i32 s39, s35, s39
	s_add_u32 s37, s37, s39
	s_mul_hi_u32 s40, s35, s34
	s_addc_u32 s36, s36, s41
	s_addc_u32 s37, s40, 0
	s_mul_i32 s34, s35, s34
	s_add_u32 s34, s36, s34
	s_addc_u32 s36, 0, s37
	s_add_u32 s37, s34, 1
	s_addc_u32 s39, s36, 0
	s_add_u32 s40, s34, 2
	s_mul_i32 s63, s6, s36
	s_mul_hi_u32 s64, s6, s34
	s_addc_u32 s41, s36, 0
	s_add_i32 s64, s64, s63
	s_mul_i32 s63, s6, s34
	v_mov_b32_e32 v10, s63
	v_sub_co_u32_e32 v10, vcc, s38, v10
	s_cmp_lg_u64 vcc, 0
	s_subb_u32 s35, s35, s64
	v_subrev_co_u32_e32 v11, vcc, s6, v10
	s_cmp_lg_u64 vcc, 0
	s_subb_u32 s63, s35, 0
	v_readfirstlane_b32 s64, v11
	s_cmp_ge_u32 s64, s6
	s_cselect_b32 s64, -1, 0
	s_cmp_eq_u32 s63, 0
	s_cselect_b32 s63, s64, -1
	s_cmp_lg_u32 s63, 0
	s_cselect_b32 s40, s40, s37
	s_cselect_b32 s37, s41, s39
	v_readfirstlane_b32 s39, v10
	s_cmp_ge_u32 s39, s6
	s_cselect_b32 s39, -1, 0
	s_cmp_eq_u32 s35, 0
	s_cselect_b32 s35, s39, -1
	s_cmp_lg_u32 s35, 0
	s_cselect_b32 s37, s37, s36
	s_cselect_b32 s36, s40, s34
	s_cbranch_execnz .LBB38_8
.LBB38_7:                               ;   in Loop: Header=BB38_4 Depth=1
	v_cvt_f32_u32_e32 v10, s6
	s_sub_i32 s34, 0, s6
	v_rcp_iflag_f32_e32 v10, v10
	s_nop 0
	v_mul_f32_e32 v10, 0x4f7ffffe, v10
	v_cvt_u32_f32_e32 v10, v10
	s_nop 0
	v_readfirstlane_b32 s35, v10
	s_mul_i32 s34, s34, s35
	s_mul_hi_u32 s34, s35, s34
	s_add_i32 s35, s35, s34
	s_mul_hi_u32 s34, s38, s35
	s_mul_i32 s36, s34, s6
	s_sub_i32 s36, s38, s36
	s_add_i32 s35, s34, 1
	s_sub_i32 s37, s36, s6
	s_cmp_ge_u32 s36, s6
	s_cselect_b32 s34, s35, s34
	s_cselect_b32 s36, s37, s36
	s_add_i32 s35, s34, 1
	s_cmp_ge_u32 s36, s6
	s_cselect_b32 s36, s35, s34
	s_mov_b32 s37, s7
.LBB38_8:                               ;   in Loop: Header=BB38_4 Depth=1
	s_mul_i32 s34, s30, s13
	s_mul_hi_u32 s35, s30, s12
	s_add_i32 s34, s35, s34
	s_mul_i32 s35, s31, s12
	s_add_i32 s35, s34, s35
	s_and_b64 s[2:3], s[2:3], exec
	s_cselect_b32 s2, 2, 1
	s_add_u32 s2, s2, s36
	s_addc_u32 s3, 0, s37
	v_cmp_gt_u64_e64 s[38:39], s[2:3], 1
	s_mul_i32 s34, s30, s12
	s_mov_b64 s[36:37], -1
	s_and_b64 vcc, exec, s[38:39]
	s_mov_b64 s[38:39], s[4:5]
	s_cbranch_vccz .LBB38_12
; %bb.9:                                ;   in Loop: Header=BB38_4 Depth=1
	s_and_b32 s36, s2, -2
	s_add_u32 s63, s4, s6
	s_mov_b32 s37, s3
	s_addc_u32 s64, 0, 0
	s_lshl_b64 s[38:39], s[6:7], 1
	s_mov_b32 s65, s33
	s_mov_b32 s66, s42
	;; [unrolled: 1-line block ×6, first 2 shown]
	s_mov_b64 s[40:41], s[36:37]
.LBB38_10:                              ;   Parent Loop BB38_4 Depth=1
                                        ; =>  This Inner Loop Header: Depth=2
	s_mul_hi_u32 s71, s65, s43
	s_mul_hi_u32 s72, s63, s44
	s_mul_i32 s73, s63, s57
	s_mul_hi_u32 s74, s63, s56
	s_add_i32 s72, s72, s63
	s_add_i32 s71, s71, s65
	s_mul_i32 s75, s64, s56
	s_mul_i32 s76, s65, s55
	s_mul_hi_u32 s77, s65, s54
	s_add_i32 s73, s74, s73
	s_lshr_b32 s71, s71, s45
	s_lshr_b32 s72, s72, s46
	s_mul_i32 s78, s66, s54
	s_add_i32 s74, s77, s76
	s_add_i32 s82, s73, s75
	s_mul_i32 s73, s72, s47
	s_mul_i32 s75, s71, s10
	s_add_i32 s83, s74, s78
	s_mul_i32 s76, s49, s72
	s_mul_hi_u32 s77, s48, s72
	s_mul_i32 s78, s29, s71
	s_mul_hi_u32 s79, s28, s71
	s_mul_i32 s74, s28, s71
	s_sub_i32 s71, s65, s75
	s_sub_i32 s84, s63, s73
	s_add_i32 s73, s77, s76
	s_add_i32 s75, s79, s78
	s_mul_i32 s77, s53, s84
	s_mul_hi_u32 s79, s52, s84
	s_mul_i32 s76, s52, s84
	s_mul_i32 s84, s51, s71
	s_mul_hi_u32 s85, s50, s71
	s_mul_i32 s81, s65, s54
	s_add_i32 s77, s79, s77
	s_add_i32 s79, s85, s84
	s_mul_i32 s78, s50, s71
	s_add_u32 s71, s81, s30
	s_mul_i32 s80, s63, s56
	s_addc_u32 s81, s83, s31
	s_add_u32 s85, s80, s69
	s_mul_i32 s83, s71, s59
	s_mul_hi_u32 s84, s71, s58
	s_addc_u32 s80, s82, s70
	s_mul_i32 s82, s85, s61
	s_mul_hi_u32 s86, s85, s60
	s_mul_i32 s81, s81, s58
	s_add_i32 s83, s84, s83
	s_add_i32 s82, s86, s82
	s_mul_i32 s80, s80, s60
	s_lshl_b64 s[74:75], s[74:75], 2
	s_add_i32 s81, s83, s81
	s_add_i32 s83, s82, s80
	s_mul_i32 s72, s48, s72
	s_add_u32 s74, s20, s74
	s_addc_u32 s75, s21, s75
	s_lshl_b64 s[72:73], s[72:73], 2
	s_add_u32 s80, s20, s72
	s_addc_u32 s82, s21, s73
	s_lshl_b64 s[72:73], s[78:79], 2
	;; [unrolled: 3-line block ×4, first 2 shown]
	s_add_u32 s74, s74, s72
	s_addc_u32 s75, s75, s73
	s_add_u32 s72, s76, s72
	v_lshl_add_u64 v[10:11], s[74:75], 0, v[4:5]
	s_addc_u32 s73, s77, s73
	global_load_dword v13, v[10:11], off
	v_lshl_add_u64 v[10:11], s[72:73], 0, v[4:5]
	global_load_dword v16, v[10:11], off
	s_add_u32 s63, s63, s67
	s_addc_u32 s64, s64, s68
	s_add_u32 s65, s65, s38
	s_addc_u32 s66, s66, s39
	s_add_u32 s40, s40, -2
	s_mul_i32 s80, s71, s58
	s_addc_u32 s41, s41, -1
	s_mul_i32 s82, s85, s60
	v_lshl_add_u64 v[10:11], s[80:81], 1, v[2:3]
	s_cmp_lg_u64 s[40:41], 0
	v_lshl_add_u64 v[14:15], s[82:83], 1, v[2:3]
	s_waitcnt vmcnt(1)
	v_cvt_f16_f32_e32 v13, v13
	s_waitcnt vmcnt(0)
	v_cvt_f16_f32_e32 v16, v16
	global_store_short v[10:11], v13, off
	global_store_short v[14:15], v16, off
	s_cbranch_scc1 .LBB38_10
; %bb.11:                               ;   in Loop: Header=BB38_4 Depth=1
	s_mul_i32 s38, s37, s6
	s_mul_hi_u32 s39, s36, s6
	s_add_i32 s39, s39, s38
	s_mul_i32 s38, s36, s6
	s_add_u32 s38, s38, s4
	s_addc_u32 s39, s39, 0
	s_cmp_lg_u64 s[2:3], s[36:37]
	s_cselect_b64 s[36:37], -1, 0
.LBB38_12:                              ;   in Loop: Header=BB38_4 Depth=1
	s_and_b64 vcc, exec, s[36:37]
	s_cbranch_vccz .LBB38_3
; %bb.13:                               ;   in Loop: Header=BB38_4 Depth=1
	s_mul_i32 s2, s18, s39
	s_mul_hi_u32 s3, s18, s38
	s_add_i32 s2, s3, s2
	s_mul_i32 s3, s19, s38
	s_add_i32 s2, s2, s3
	s_mul_i32 s3, s18, s38
	s_add_u32 s3, s30, s3
	s_addc_u32 s2, s31, s2
	s_mul_i32 s36, s23, s3
	s_mul_i32 s2, s22, s2
	v_mov_b32_e32 v10, s3
	s_add_i32 s36, s2, s36
	v_mad_u64_u32 v[10:11], s[2:3], s22, v10, v[2:3]
	s_mul_i32 s2, s17, s6
	s_mul_hi_u32 s3, s16, s6
	v_add_u32_e32 v11, s36, v11
	s_add_i32 s3, s3, s2
	s_mul_i32 s2, s16, s6
.LBB38_14:                              ;   Parent Loop BB38_4 Depth=1
                                        ; =>  This Inner Loop Header: Depth=2
	s_mul_hi_u32 s36, s8, s38
	s_add_i32 s36, s38, s36
	s_lshr_b32 s36, s36, s9
	s_mul_i32 s37, s62, s36
	s_mul_i32 s40, s36, s29
	s_mul_hi_u32 s41, s36, s28
	s_add_i32 s63, s38, s37
	s_mul_i32 s36, s36, s28
	s_add_i32 s37, s41, s40
	s_mul_i32 s41, s63, s15
	s_mul_hi_u32 s64, s63, s14
	s_lshl_b64 s[36:37], s[36:37], 2
	s_add_i32 s41, s64, s41
	s_mul_i32 s40, s63, s14
	s_add_u32 s63, s20, s36
	s_addc_u32 s64, s21, s37
	s_lshl_b64 s[36:37], s[40:41], 2
	s_add_u32 s40, s63, s36
	s_addc_u32 s41, s64, s37
	s_lshl_b64 s[36:37], s[34:35], 2
	s_add_u32 s36, s40, s36
	s_addc_u32 s37, s41, s37
	v_lshl_add_u64 v[14:15], v[0:1], 2, s[36:37]
	global_load_dword v13, v[14:15], off
	s_add_u32 s38, s38, s6
	s_addc_u32 s39, s39, 0
	v_cmp_ge_i64_e32 vcc, s[38:39], v[8:9]
	s_and_b64 vcc, exec, vcc
	s_waitcnt vmcnt(0)
	v_cvt_f16_f32_e32 v13, v13
	global_store_short v[10:11], v13, off
	v_lshl_add_u64 v[10:11], v[10:11], 0, s[2:3]
	s_cbranch_vccz .LBB38_14
	s_branch .LBB38_3
.LBB38_15:                              ;   in Loop: Header=BB38_4 Depth=1
                                        ; implicit-def: $sgpr36_sgpr37
	s_branch .LBB38_7
.LBB38_16:
	s_endpgm
	.section	.rodata,"a",@progbits
	.p2align	6, 0x0
	.amdhsa_kernel _ZL13convert_unaryIf6__halfEvPKvPT0_lll15HIP_vector_typeIjLj3EElll
		.amdhsa_group_segment_fixed_size 0
		.amdhsa_private_segment_fixed_size 0
		.amdhsa_kernarg_size 336
		.amdhsa_user_sgpr_count 2
		.amdhsa_user_sgpr_dispatch_ptr 0
		.amdhsa_user_sgpr_queue_ptr 0
		.amdhsa_user_sgpr_kernarg_segment_ptr 1
		.amdhsa_user_sgpr_dispatch_id 0
		.amdhsa_user_sgpr_kernarg_preload_length 0
		.amdhsa_user_sgpr_kernarg_preload_offset 0
		.amdhsa_user_sgpr_private_segment_size 0
		.amdhsa_uses_dynamic_stack 0
		.amdhsa_enable_private_segment 0
		.amdhsa_system_sgpr_workgroup_id_x 1
		.amdhsa_system_sgpr_workgroup_id_y 1
		.amdhsa_system_sgpr_workgroup_id_z 1
		.amdhsa_system_sgpr_workgroup_info 0
		.amdhsa_system_vgpr_workitem_id 0
		.amdhsa_next_free_vgpr 17
		.amdhsa_next_free_sgpr 87
		.amdhsa_accum_offset 20
		.amdhsa_reserve_vcc 1
		.amdhsa_float_round_mode_32 0
		.amdhsa_float_round_mode_16_64 0
		.amdhsa_float_denorm_mode_32 3
		.amdhsa_float_denorm_mode_16_64 3
		.amdhsa_dx10_clamp 1
		.amdhsa_ieee_mode 1
		.amdhsa_fp16_overflow 0
		.amdhsa_tg_split 0
		.amdhsa_exception_fp_ieee_invalid_op 0
		.amdhsa_exception_fp_denorm_src 0
		.amdhsa_exception_fp_ieee_div_zero 0
		.amdhsa_exception_fp_ieee_overflow 0
		.amdhsa_exception_fp_ieee_underflow 0
		.amdhsa_exception_fp_ieee_inexact 0
		.amdhsa_exception_int_div_zero 0
	.end_amdhsa_kernel
	.section	.text._ZL13convert_unaryIf6__halfEvPKvPT0_lll15HIP_vector_typeIjLj3EElll,"axG",@progbits,_ZL13convert_unaryIf6__halfEvPKvPT0_lll15HIP_vector_typeIjLj3EElll,comdat
.Lfunc_end38:
	.size	_ZL13convert_unaryIf6__halfEvPKvPT0_lll15HIP_vector_typeIjLj3EElll, .Lfunc_end38-_ZL13convert_unaryIf6__halfEvPKvPT0_lll15HIP_vector_typeIjLj3EElll
                                        ; -- End function
	.section	.AMDGPU.csdata,"",@progbits
; Kernel info:
; codeLenInByte = 1752
; NumSgprs: 93
; NumVgprs: 17
; NumAgprs: 0
; TotalNumVgprs: 17
; ScratchSize: 0
; MemoryBound: 0
; FloatMode: 240
; IeeeMode: 1
; LDSByteSize: 0 bytes/workgroup (compile time only)
; SGPRBlocks: 11
; VGPRBlocks: 2
; NumSGPRsForWavesPerEU: 93
; NumVGPRsForWavesPerEU: 17
; AccumOffset: 20
; Occupancy: 8
; WaveLimiterHint : 0
; COMPUTE_PGM_RSRC2:SCRATCH_EN: 0
; COMPUTE_PGM_RSRC2:USER_SGPR: 2
; COMPUTE_PGM_RSRC2:TRAP_HANDLER: 0
; COMPUTE_PGM_RSRC2:TGID_X_EN: 1
; COMPUTE_PGM_RSRC2:TGID_Y_EN: 1
; COMPUTE_PGM_RSRC2:TGID_Z_EN: 1
; COMPUTE_PGM_RSRC2:TIDIG_COMP_CNT: 0
; COMPUTE_PGM_RSRC3_GFX90A:ACCUM_OFFSET: 4
; COMPUTE_PGM_RSRC3_GFX90A:TG_SPLIT: 0
	.section	.text._ZL16dequantize_blockILi128ELi1EXadL_ZL15dequantize_q1_0PKvliR15HIP_vector_typeIfLj2EEEE6__halfEvS1_PT2_lllS2_IjLj3EElll,"axG",@progbits,_ZL16dequantize_blockILi128ELi1EXadL_ZL15dequantize_q1_0PKvliR15HIP_vector_typeIfLj2EEEE6__halfEvS1_PT2_lllS2_IjLj3EElll,comdat
	.globl	_ZL16dequantize_blockILi128ELi1EXadL_ZL15dequantize_q1_0PKvliR15HIP_vector_typeIfLj2EEEE6__halfEvS1_PT2_lllS2_IjLj3EElll ; -- Begin function _ZL16dequantize_blockILi128ELi1EXadL_ZL15dequantize_q1_0PKvliR15HIP_vector_typeIfLj2EEEE6__halfEvS1_PT2_lllS2_IjLj3EElll
	.p2align	8
	.type	_ZL16dequantize_blockILi128ELi1EXadL_ZL15dequantize_q1_0PKvliR15HIP_vector_typeIfLj2EEEE6__halfEvS1_PT2_lllS2_IjLj3EElll,@function
_ZL16dequantize_blockILi128ELi1EXadL_ZL15dequantize_q1_0PKvliR15HIP_vector_typeIfLj2EEEE6__halfEvS1_PT2_lllS2_IjLj3EElll: ; @_ZL16dequantize_blockILi128ELi1EXadL_ZL15dequantize_q1_0PKvliR15HIP_vector_typeIfLj2EEEE6__halfEvS1_PT2_lllS2_IjLj3EElll
; %bb.0:
	s_mov_b32 s6, s3
	s_load_dword s3, s[0:1], 0x5c
	s_load_dwordx4 s[20:23], s[0:1], 0x10
	s_add_u32 s24, s0, 0x50
	s_addc_u32 s25, s1, 0
	v_mov_b32_e32 v1, 0
	s_waitcnt lgkmcnt(0)
	s_and_b32 s5, s3, 0xffff
	v_mov_b32_e32 v2, s2
	v_mad_u64_u32 v[4:5], s[8:9], s5, v2, v[0:1]
	v_lshlrev_b64 v[8:9], 1, v[4:5]
	v_cmp_gt_i64_e32 vcc, s[20:21], v[8:9]
	s_and_saveexec_b64 s[8:9], vcc
	s_cbranch_execz .LBB39_7
; %bb.1:
	s_load_dwordx2 s[28:29], s[0:1], 0x20
	s_mov_b32 s7, 0
	v_mov_b64_e32 v[2:3], s[22:23]
	v_cmp_ge_i64_e32 vcc, s[6:7], v[2:3]
	s_cbranch_vccnz .LBB39_7
; %bb.2:
	s_load_dwordx4 s[16:19], s[0:1], 0x0
	s_load_dwordx8 s[8:15], s[0:1], 0x28
	s_load_dwordx2 s[26:27], s[0:1], 0x48
	s_mul_i32 s0, s23, s4
	s_mul_hi_u32 s1, s22, s4
	s_add_i32 s1, s1, s0
	s_mul_i32 s0, s22, s4
	s_waitcnt lgkmcnt(0)
	v_mov_b64_e32 v[2:3], s[28:29]
	s_load_dword s28, s[24:25], 0x4
	s_add_u32 s0, s0, s6
	s_addc_u32 s1, s1, 0
	s_mul_i32 s1, s20, s1
	s_mul_hi_u32 s11, s20, s0
	v_lshrrev_b64 v[4:5], 6, v[4:5]
	s_add_i32 s1, s11, s1
	s_mul_i32 s11, s21, s0
	s_add_i32 s1, s1, s11
	s_mul_i32 s0, s20, s0
	v_lshlrev_b64 v[10:11], 8, v[4:5]
	v_lshl_add_u64 v[10:11], s[0:1], 1, v[10:11]
	v_mov_b32_e32 v9, s3
	s_waitcnt lgkmcnt(0)
	s_mul_i32 s0, s21, s28
	s_mul_hi_u32 s1, s20, s28
	v_mad_legacy_u16 v0, s2, v9, v0
	s_add_i32 s1, s1, s0
	s_mul_i32 s0, s20, s28
	s_mov_b32 s5, s7
	v_mov_b32_e32 v7, 0
	v_and_b32_e32 v0, 63, v0
	s_lshl_b64 s[2:3], s[0:1], 1
	s_mul_i32 s0, s22, s21
	s_mul_hi_u32 s1, s22, s20
	v_lshlrev_b32_e32 v12, 2, v0
	v_mov_b32_e32 v13, v7
	s_add_i32 s0, s1, s0
	s_mul_i32 s1, s23, s20
	v_cmp_lt_i64_e32 vcc, s[4:5], v[2:3]
	v_bfe_u32 v6, v8, 3, 4
	v_and_b32_e32 v8, 6, v8
	v_lshl_add_u64 v[10:11], v[10:11], 0, v[12:13]
	s_add_i32 s1, s0, s1
	s_mul_i32 s0, s22, s20
	v_cndmask_b32_e64 v0, 0, 1, vcc
	v_or_b32_e32 v1, 1, v8
	v_lshl_add_u64 v[10:11], s[18:19], 0, v[10:11]
	s_lshl_b64 s[18:19], s[0:1], 1
	s_sub_i32 s29, 0, s10
	v_mov_b64_e32 v[12:13], s[22:23]
	v_cmp_ne_u32_e64 s[0:1], 1, v0
	s_branch .LBB39_4
.LBB39_3:                               ;   in Loop: Header=BB39_4 Depth=1
	s_add_u32 s6, s6, s28
	s_addc_u32 s7, s7, 0
	v_cmp_ge_i64_e32 vcc, s[6:7], v[12:13]
	v_lshl_add_u64 v[10:11], v[10:11], 0, s[2:3]
	s_cbranch_vccnz .LBB39_7
.LBB39_4:                               ; =>This Loop Header: Depth=1
                                        ;     Child Loop BB39_6 Depth 2
	s_and_b64 vcc, exec, s[0:1]
	s_cbranch_vccnz .LBB39_3
; %bb.5:                                ;   in Loop: Header=BB39_4 Depth=1
	s_load_dword s22, s[24:25], 0x8
	s_mul_i32 s10, s6, s13
	s_mul_hi_u32 s11, s6, s12
	s_add_i32 s10, s11, s10
	s_mul_i32 s11, s7, s12
	s_add_i32 s20, s10, s11
	s_waitcnt lgkmcnt(0)
	s_mul_i32 s10, s19, s22
	s_mul_hi_u32 s11, s18, s22
	s_mul_i32 s23, s6, s12
	s_add_i32 s11, s11, s10
	s_mul_i32 s10, s18, s22
	s_mul_i32 s30, s20, 18
	v_mov_b64_e32 v[14:15], v[10:11]
	s_mov_b64 s[20:21], s[4:5]
.LBB39_6:                               ;   Parent Loop BB39_4 Depth=1
                                        ; =>  This Inner Loop Header: Depth=2
	s_mul_hi_u32 s31, s8, s20
	s_add_i32 s31, s20, s31
	s_lshr_b32 s31, s31, s9
	s_mul_i32 s35, s29, s31
	s_mul_i32 s36, s31, s27
	s_mul_hi_u32 s37, s31, s26
	s_mul_i32 s31, s31, s26
	s_add_i32 s35, s20, s35
	s_add_i32 s36, s37, s36
	s_mul_hi_u32 s37, s31, 18
	s_mul_i32 s38, s35, s15
	s_mul_hi_u32 s39, s35, s14
	s_mul_i32 s36, s36, 18
	s_mul_i32 s31, s31, 18
	;; [unrolled: 1-line block ×3, first 2 shown]
	s_add_i32 s38, s39, s38
	s_add_i32 s37, s37, s36
	s_mul_hi_u32 s36, s35, 18
	s_add_u32 s31, s16, s31
	s_mul_i32 s38, s38, 18
	s_mul_i32 s35, s35, 18
	s_addc_u32 s37, s17, s37
	s_add_i32 s36, s36, s38
	s_mul_hi_u32 s33, s23, 18
	s_add_u32 s31, s31, s35
	s_mul_i32 s34, s23, 18
	s_addc_u32 s35, s37, s36
	s_add_i32 s33, s33, s30
	s_add_u32 s34, s31, s34
	s_addc_u32 s35, s35, s33
	v_mad_u64_u32 v[16:17], s[34:35], v4, 18, s[34:35]
	v_mov_b32_e32 v0, v17
	v_mad_u64_u32 v[18:19], s[34:35], v5, 18, v[0:1]
	v_mov_b32_e32 v17, v18
	v_lshl_add_u64 v[18:19], v[16:17], 0, v[6:7]
	global_load_ushort v0, v[16:17], off
	global_load_ubyte v9, v[18:19], off offset:2
	s_add_u32 s20, s20, s22
	s_addc_u32 s21, s21, 0
	v_cmp_ge_i64_e32 vcc, s[20:21], v[2:3]
	s_and_b64 vcc, exec, vcc
	s_waitcnt vmcnt(1)
	v_cvt_f32_f16_e32 v0, v0
	s_waitcnt vmcnt(0)
	v_lshrrev_b32_e32 v16, v1, v9
	v_lshrrev_b32_e32 v9, v8, v9
	v_lshlrev_b32_e32 v9, 1, v9
	v_lshlrev_b32_e32 v16, 1, v16
	v_and_b32_e32 v16, 2, v16
	v_and_b32_e32 v9, 2, v9
	v_add_u32_e32 v9, -1, v9
	v_add_u32_e32 v16, -1, v16
	v_cvt_f32_i32_e32 v17, v16
	v_cvt_f32_i32_e32 v16, v9
	v_pk_mul_f32 v[16:17], v[0:1], v[16:17] op_sel_hi:[0,1]
	v_cvt_f16_f32_e32 v0, v17
	v_cvt_f16_f32_e32 v9, v16
	v_pack_b32_f16 v0, v9, v0
	global_store_dword v[14:15], v0, off
	v_lshl_add_u64 v[14:15], v[14:15], 0, s[10:11]
	s_cbranch_vccz .LBB39_6
	s_branch .LBB39_3
.LBB39_7:
	s_endpgm
	.section	.rodata,"a",@progbits
	.p2align	6, 0x0
	.amdhsa_kernel _ZL16dequantize_blockILi128ELi1EXadL_ZL15dequantize_q1_0PKvliR15HIP_vector_typeIfLj2EEEE6__halfEvS1_PT2_lllS2_IjLj3EElll
		.amdhsa_group_segment_fixed_size 0
		.amdhsa_private_segment_fixed_size 0
		.amdhsa_kernarg_size 336
		.amdhsa_user_sgpr_count 2
		.amdhsa_user_sgpr_dispatch_ptr 0
		.amdhsa_user_sgpr_queue_ptr 0
		.amdhsa_user_sgpr_kernarg_segment_ptr 1
		.amdhsa_user_sgpr_dispatch_id 0
		.amdhsa_user_sgpr_kernarg_preload_length 0
		.amdhsa_user_sgpr_kernarg_preload_offset 0
		.amdhsa_user_sgpr_private_segment_size 0
		.amdhsa_uses_dynamic_stack 0
		.amdhsa_enable_private_segment 0
		.amdhsa_system_sgpr_workgroup_id_x 1
		.amdhsa_system_sgpr_workgroup_id_y 1
		.amdhsa_system_sgpr_workgroup_id_z 1
		.amdhsa_system_sgpr_workgroup_info 0
		.amdhsa_system_vgpr_workitem_id 0
		.amdhsa_next_free_vgpr 20
		.amdhsa_next_free_sgpr 40
		.amdhsa_accum_offset 20
		.amdhsa_reserve_vcc 1
		.amdhsa_float_round_mode_32 0
		.amdhsa_float_round_mode_16_64 0
		.amdhsa_float_denorm_mode_32 3
		.amdhsa_float_denorm_mode_16_64 3
		.amdhsa_dx10_clamp 1
		.amdhsa_ieee_mode 1
		.amdhsa_fp16_overflow 0
		.amdhsa_tg_split 0
		.amdhsa_exception_fp_ieee_invalid_op 0
		.amdhsa_exception_fp_denorm_src 0
		.amdhsa_exception_fp_ieee_div_zero 0
		.amdhsa_exception_fp_ieee_overflow 0
		.amdhsa_exception_fp_ieee_underflow 0
		.amdhsa_exception_fp_ieee_inexact 0
		.amdhsa_exception_int_div_zero 0
	.end_amdhsa_kernel
	.section	.text._ZL16dequantize_blockILi128ELi1EXadL_ZL15dequantize_q1_0PKvliR15HIP_vector_typeIfLj2EEEE6__halfEvS1_PT2_lllS2_IjLj3EElll,"axG",@progbits,_ZL16dequantize_blockILi128ELi1EXadL_ZL15dequantize_q1_0PKvliR15HIP_vector_typeIfLj2EEEE6__halfEvS1_PT2_lllS2_IjLj3EElll,comdat
.Lfunc_end39:
	.size	_ZL16dequantize_blockILi128ELi1EXadL_ZL15dequantize_q1_0PKvliR15HIP_vector_typeIfLj2EEEE6__halfEvS1_PT2_lllS2_IjLj3EElll, .Lfunc_end39-_ZL16dequantize_blockILi128ELi1EXadL_ZL15dequantize_q1_0PKvliR15HIP_vector_typeIfLj2EEEE6__halfEvS1_PT2_lllS2_IjLj3EElll
                                        ; -- End function
	.section	.AMDGPU.csdata,"",@progbits
; Kernel info:
; codeLenInByte = 748
; NumSgprs: 46
; NumVgprs: 20
; NumAgprs: 0
; TotalNumVgprs: 20
; ScratchSize: 0
; MemoryBound: 0
; FloatMode: 240
; IeeeMode: 1
; LDSByteSize: 0 bytes/workgroup (compile time only)
; SGPRBlocks: 5
; VGPRBlocks: 2
; NumSGPRsForWavesPerEU: 46
; NumVGPRsForWavesPerEU: 20
; AccumOffset: 20
; Occupancy: 8
; WaveLimiterHint : 0
; COMPUTE_PGM_RSRC2:SCRATCH_EN: 0
; COMPUTE_PGM_RSRC2:USER_SGPR: 2
; COMPUTE_PGM_RSRC2:TRAP_HANDLER: 0
; COMPUTE_PGM_RSRC2:TGID_X_EN: 1
; COMPUTE_PGM_RSRC2:TGID_Y_EN: 1
; COMPUTE_PGM_RSRC2:TGID_Z_EN: 1
; COMPUTE_PGM_RSRC2:TIDIG_COMP_CNT: 0
; COMPUTE_PGM_RSRC3_GFX90A:ACCUM_OFFSET: 4
; COMPUTE_PGM_RSRC3_GFX90A:TG_SPLIT: 0
	.section	.text._ZL16dequantize_blockILi32ELi2EXadL_ZL15dequantize_q4_0PKvliR15HIP_vector_typeIfLj2EEEE6__halfEvS1_PT2_lllS2_IjLj3EElll,"axG",@progbits,_ZL16dequantize_blockILi32ELi2EXadL_ZL15dequantize_q4_0PKvliR15HIP_vector_typeIfLj2EEEE6__halfEvS1_PT2_lllS2_IjLj3EElll,comdat
	.globl	_ZL16dequantize_blockILi32ELi2EXadL_ZL15dequantize_q4_0PKvliR15HIP_vector_typeIfLj2EEEE6__halfEvS1_PT2_lllS2_IjLj3EElll ; -- Begin function _ZL16dequantize_blockILi32ELi2EXadL_ZL15dequantize_q4_0PKvliR15HIP_vector_typeIfLj2EEEE6__halfEvS1_PT2_lllS2_IjLj3EElll
	.p2align	8
	.type	_ZL16dequantize_blockILi32ELi2EXadL_ZL15dequantize_q4_0PKvliR15HIP_vector_typeIfLj2EEEE6__halfEvS1_PT2_lllS2_IjLj3EElll,@function
_ZL16dequantize_blockILi32ELi2EXadL_ZL15dequantize_q4_0PKvliR15HIP_vector_typeIfLj2EEEE6__halfEvS1_PT2_lllS2_IjLj3EElll: ; @_ZL16dequantize_blockILi32ELi2EXadL_ZL15dequantize_q4_0PKvliR15HIP_vector_typeIfLj2EEEE6__halfEvS1_PT2_lllS2_IjLj3EElll
; %bb.0:
	s_mov_b32 s6, s3
	s_load_dword s3, s[0:1], 0x5c
	s_load_dwordx4 s[20:23], s[0:1], 0x10
	s_add_u32 s24, s0, 0x50
	s_addc_u32 s25, s1, 0
	v_mov_b32_e32 v1, 0
	s_waitcnt lgkmcnt(0)
	s_and_b32 s3, s3, 0xffff
	v_mov_b32_e32 v2, s2
	v_mad_u64_u32 v[4:5], s[2:3], s3, v2, v[0:1]
	v_lshlrev_b64 v[0:1], 1, v[4:5]
	v_cmp_gt_i64_e32 vcc, s[20:21], v[0:1]
	s_and_saveexec_b64 s[2:3], vcc
	s_cbranch_execz .LBB40_7
; %bb.1:
	s_load_dwordx2 s[26:27], s[0:1], 0x20
	s_mov_b32 s7, 0
	v_mov_b64_e32 v[0:1], s[22:23]
	v_cmp_ge_i64_e32 vcc, s[6:7], v[0:1]
	s_cbranch_vccnz .LBB40_7
; %bb.2:
	s_load_dwordx4 s[16:19], s[0:1], 0x0
	s_load_dwordx8 s[8:15], s[0:1], 0x28
	s_load_dwordx2 s[2:3], s[0:1], 0x48
	s_mul_i32 s0, s23, s4
	s_mul_hi_u32 s1, s22, s4
	s_add_i32 s1, s1, s0
	s_mul_i32 s0, s22, s4
	s_waitcnt lgkmcnt(0)
	v_mov_b64_e32 v[0:1], s[26:27]
	s_load_dword s26, s[24:25], 0x4
	s_add_u32 s0, s0, s6
	s_addc_u32 s1, s1, 0
	s_mul_i32 s1, s20, s1
	s_mul_hi_u32 s11, s20, s0
	v_lshrrev_b64 v[2:3], 4, v[4:5]
	s_add_i32 s1, s11, s1
	s_mul_i32 s11, s21, s0
	v_and_b32_e32 v4, 15, v4
	v_mov_b32_e32 v5, 0
	s_add_i32 s1, s1, s11
	s_mul_i32 s0, s20, s0
	v_lshlrev_b64 v[6:7], 6, v[2:3]
	v_lshl_add_u64 v[6:7], s[0:1], 1, v[6:7]
	v_lshlrev_b32_e32 v8, 1, v4
	v_mov_b32_e32 v9, v5
	s_waitcnt lgkmcnt(0)
	s_mul_i32 s0, s21, s26
	s_mul_hi_u32 s1, s20, s26
	v_lshl_add_u64 v[6:7], v[6:7], 0, v[8:9]
	s_add_i32 s1, s1, s0
	s_mul_i32 s0, s20, s26
	s_mov_b32 s5, s7
	v_lshl_add_u64 v[6:7], v[6:7], 0, s[18:19]
	s_lshl_b64 s[18:19], s[0:1], 1
	s_mul_i32 s0, s22, s21
	s_mul_hi_u32 s1, s22, s20
	s_add_i32 s0, s1, s0
	s_mul_i32 s1, s23, s20
	v_cmp_lt_i64_e32 vcc, s[4:5], v[0:1]
	s_add_i32 s1, s0, s1
	s_mul_i32 s0, s22, s20
	v_cndmask_b32_e64 v10, 0, 1, vcc
	v_lshl_add_u64 v[6:7], v[6:7], 0, 32
	s_lshl_b64 s[20:21], s[0:1], 1
	s_sub_i32 s27, 0, s10
	v_mov_b64_e32 v[8:9], s[22:23]
	v_cmp_ne_u32_e64 s[0:1], 1, v10
	s_branch .LBB40_4
.LBB40_3:                               ;   in Loop: Header=BB40_4 Depth=1
	s_add_u32 s6, s6, s26
	s_addc_u32 s7, s7, 0
	v_cmp_ge_i64_e32 vcc, s[6:7], v[8:9]
	v_lshl_add_u64 v[6:7], v[6:7], 0, s[18:19]
	s_cbranch_vccnz .LBB40_7
.LBB40_4:                               ; =>This Loop Header: Depth=1
                                        ;     Child Loop BB40_6 Depth 2
	s_and_b64 vcc, exec, s[0:1]
	s_cbranch_vccnz .LBB40_3
; %bb.5:                                ;   in Loop: Header=BB40_4 Depth=1
	s_load_dword s28, s[24:25], 0x8
	s_mul_i32 s10, s6, s13
	s_mul_hi_u32 s11, s6, s12
	s_add_i32 s10, s11, s10
	s_mul_i32 s11, s7, s12
	s_add_i32 s22, s10, s11
	s_mul_i32 s23, s6, s12
	s_waitcnt lgkmcnt(0)
	s_mul_i32 s10, s21, s28
	s_mul_hi_u32 s11, s20, s28
	s_mul_i32 s22, s22, 18
	s_mul_hi_u32 s29, s23, 18
	s_add_i32 s11, s11, s10
	s_mul_i32 s10, s20, s28
	s_add_i32 s29, s29, s22
	s_mul_i32 s30, s23, 18
	v_mov_b64_e32 v[10:11], v[6:7]
	s_mov_b64 s[22:23], s[4:5]
.LBB40_6:                               ;   Parent Loop BB40_4 Depth=1
                                        ; =>  This Inner Loop Header: Depth=2
	s_mul_hi_u32 s31, s8, s22
	s_add_i32 s31, s22, s31
	s_lshr_b32 s31, s31, s9
	s_mul_i32 s33, s27, s31
	s_mul_i32 s34, s31, s3
	s_mul_hi_u32 s35, s31, s2
	s_mul_i32 s31, s31, s2
	s_add_i32 s33, s22, s33
	s_add_i32 s34, s35, s34
	s_mul_hi_u32 s35, s31, 18
	s_mul_i32 s36, s33, s15
	s_mul_hi_u32 s37, s33, s14
	s_mul_i32 s34, s34, 18
	s_mul_i32 s31, s31, 18
	;; [unrolled: 1-line block ×3, first 2 shown]
	s_add_i32 s36, s37, s36
	s_add_i32 s35, s35, s34
	s_mul_hi_u32 s34, s33, 18
	s_add_u32 s31, s16, s31
	s_mul_i32 s36, s36, 18
	s_mul_i32 s33, s33, 18
	s_addc_u32 s35, s17, s35
	s_add_i32 s34, s34, s36
	s_add_u32 s31, s31, s33
	s_addc_u32 s33, s35, s34
	s_add_u32 s34, s31, s30
	s_addc_u32 s35, s33, s29
	v_mad_u64_u32 v[12:13], s[34:35], v2, 18, s[34:35]
	v_mov_b32_e32 v14, v13
	v_mad_u64_u32 v[14:15], s[34:35], v3, 18, v[14:15]
	v_mov_b32_e32 v13, v14
	v_lshl_add_u64 v[14:15], v[12:13], 0, v[4:5]
	global_load_ushort v16, v[12:13], off
	global_load_ubyte v17, v[14:15], off offset:2
	s_add_u32 s22, s22, s28
	s_addc_u32 s23, s23, 0
	v_cmp_ge_i64_e32 vcc, s[22:23], v[0:1]
	s_and_b64 vcc, exec, vcc
	s_waitcnt vmcnt(0)
	v_and_b32_e32 v12, 15, v17
	v_lshrrev_b32_e32 v13, 4, v17
	v_add_u32_e32 v12, -8, v12
	v_add_u32_e32 v13, -8, v13
	v_cvt_f32_i32_e32 v12, v12
	v_cvt_f32_i32_e32 v13, v13
	v_fma_mixlo_f16 v12, v16, v12, 0 op_sel_hi:[1,0,0]
	v_fma_mixlo_f16 v13, v16, v13, 0 op_sel_hi:[1,0,0]
	global_store_short v[10:11], v12, off offset:-32
	global_store_short v[10:11], v13, off
	v_lshl_add_u64 v[10:11], v[10:11], 0, s[10:11]
	s_cbranch_vccz .LBB40_6
	s_branch .LBB40_3
.LBB40_7:
	s_endpgm
	.section	.rodata,"a",@progbits
	.p2align	6, 0x0
	.amdhsa_kernel _ZL16dequantize_blockILi32ELi2EXadL_ZL15dequantize_q4_0PKvliR15HIP_vector_typeIfLj2EEEE6__halfEvS1_PT2_lllS2_IjLj3EElll
		.amdhsa_group_segment_fixed_size 0
		.amdhsa_private_segment_fixed_size 0
		.amdhsa_kernarg_size 336
		.amdhsa_user_sgpr_count 2
		.amdhsa_user_sgpr_dispatch_ptr 0
		.amdhsa_user_sgpr_queue_ptr 0
		.amdhsa_user_sgpr_kernarg_segment_ptr 1
		.amdhsa_user_sgpr_dispatch_id 0
		.amdhsa_user_sgpr_kernarg_preload_length 0
		.amdhsa_user_sgpr_kernarg_preload_offset 0
		.amdhsa_user_sgpr_private_segment_size 0
		.amdhsa_uses_dynamic_stack 0
		.amdhsa_enable_private_segment 0
		.amdhsa_system_sgpr_workgroup_id_x 1
		.amdhsa_system_sgpr_workgroup_id_y 1
		.amdhsa_system_sgpr_workgroup_id_z 1
		.amdhsa_system_sgpr_workgroup_info 0
		.amdhsa_system_vgpr_workitem_id 0
		.amdhsa_next_free_vgpr 18
		.amdhsa_next_free_sgpr 38
		.amdhsa_accum_offset 20
		.amdhsa_reserve_vcc 1
		.amdhsa_float_round_mode_32 0
		.amdhsa_float_round_mode_16_64 0
		.amdhsa_float_denorm_mode_32 3
		.amdhsa_float_denorm_mode_16_64 3
		.amdhsa_dx10_clamp 1
		.amdhsa_ieee_mode 1
		.amdhsa_fp16_overflow 0
		.amdhsa_tg_split 0
		.amdhsa_exception_fp_ieee_invalid_op 0
		.amdhsa_exception_fp_denorm_src 0
		.amdhsa_exception_fp_ieee_div_zero 0
		.amdhsa_exception_fp_ieee_overflow 0
		.amdhsa_exception_fp_ieee_underflow 0
		.amdhsa_exception_fp_ieee_inexact 0
		.amdhsa_exception_int_div_zero 0
	.end_amdhsa_kernel
	.section	.text._ZL16dequantize_blockILi32ELi2EXadL_ZL15dequantize_q4_0PKvliR15HIP_vector_typeIfLj2EEEE6__halfEvS1_PT2_lllS2_IjLj3EElll,"axG",@progbits,_ZL16dequantize_blockILi32ELi2EXadL_ZL15dequantize_q4_0PKvliR15HIP_vector_typeIfLj2EEEE6__halfEvS1_PT2_lllS2_IjLj3EElll,comdat
.Lfunc_end40:
	.size	_ZL16dequantize_blockILi32ELi2EXadL_ZL15dequantize_q4_0PKvliR15HIP_vector_typeIfLj2EEEE6__halfEvS1_PT2_lllS2_IjLj3EElll, .Lfunc_end40-_ZL16dequantize_blockILi32ELi2EXadL_ZL15dequantize_q4_0PKvliR15HIP_vector_typeIfLj2EEEE6__halfEvS1_PT2_lllS2_IjLj3EElll
                                        ; -- End function
	.section	.AMDGPU.csdata,"",@progbits
; Kernel info:
; codeLenInByte = 704
; NumSgprs: 44
; NumVgprs: 18
; NumAgprs: 0
; TotalNumVgprs: 18
; ScratchSize: 0
; MemoryBound: 0
; FloatMode: 240
; IeeeMode: 1
; LDSByteSize: 0 bytes/workgroup (compile time only)
; SGPRBlocks: 5
; VGPRBlocks: 2
; NumSGPRsForWavesPerEU: 44
; NumVGPRsForWavesPerEU: 18
; AccumOffset: 20
; Occupancy: 8
; WaveLimiterHint : 0
; COMPUTE_PGM_RSRC2:SCRATCH_EN: 0
; COMPUTE_PGM_RSRC2:USER_SGPR: 2
; COMPUTE_PGM_RSRC2:TRAP_HANDLER: 0
; COMPUTE_PGM_RSRC2:TGID_X_EN: 1
; COMPUTE_PGM_RSRC2:TGID_Y_EN: 1
; COMPUTE_PGM_RSRC2:TGID_Z_EN: 1
; COMPUTE_PGM_RSRC2:TIDIG_COMP_CNT: 0
; COMPUTE_PGM_RSRC3_GFX90A:ACCUM_OFFSET: 4
; COMPUTE_PGM_RSRC3_GFX90A:TG_SPLIT: 0
	.section	.text._ZL16dequantize_blockILi32ELi2EXadL_ZL15dequantize_q4_1PKvliR15HIP_vector_typeIfLj2EEEE6__halfEvS1_PT2_lllS2_IjLj3EElll,"axG",@progbits,_ZL16dequantize_blockILi32ELi2EXadL_ZL15dequantize_q4_1PKvliR15HIP_vector_typeIfLj2EEEE6__halfEvS1_PT2_lllS2_IjLj3EElll,comdat
	.globl	_ZL16dequantize_blockILi32ELi2EXadL_ZL15dequantize_q4_1PKvliR15HIP_vector_typeIfLj2EEEE6__halfEvS1_PT2_lllS2_IjLj3EElll ; -- Begin function _ZL16dequantize_blockILi32ELi2EXadL_ZL15dequantize_q4_1PKvliR15HIP_vector_typeIfLj2EEEE6__halfEvS1_PT2_lllS2_IjLj3EElll
	.p2align	8
	.type	_ZL16dequantize_blockILi32ELi2EXadL_ZL15dequantize_q4_1PKvliR15HIP_vector_typeIfLj2EEEE6__halfEvS1_PT2_lllS2_IjLj3EElll,@function
_ZL16dequantize_blockILi32ELi2EXadL_ZL15dequantize_q4_1PKvliR15HIP_vector_typeIfLj2EEEE6__halfEvS1_PT2_lllS2_IjLj3EElll: ; @_ZL16dequantize_blockILi32ELi2EXadL_ZL15dequantize_q4_1PKvliR15HIP_vector_typeIfLj2EEEE6__halfEvS1_PT2_lllS2_IjLj3EElll
; %bb.0:
	s_mov_b32 s6, s3
	s_load_dword s3, s[0:1], 0x5c
	s_load_dwordx4 s[20:23], s[0:1], 0x10
	s_add_u32 s24, s0, 0x50
	s_addc_u32 s25, s1, 0
	v_mov_b32_e32 v1, 0
	s_waitcnt lgkmcnt(0)
	s_and_b32 s3, s3, 0xffff
	v_mov_b32_e32 v2, s2
	v_mad_u64_u32 v[4:5], s[2:3], s3, v2, v[0:1]
	v_lshlrev_b64 v[0:1], 1, v[4:5]
	v_cmp_gt_i64_e32 vcc, s[20:21], v[0:1]
	s_and_saveexec_b64 s[2:3], vcc
	s_cbranch_execz .LBB41_7
; %bb.1:
	s_load_dwordx2 s[26:27], s[0:1], 0x20
	s_mov_b32 s7, 0
	v_mov_b64_e32 v[0:1], s[22:23]
	v_cmp_ge_i64_e32 vcc, s[6:7], v[0:1]
	s_cbranch_vccnz .LBB41_7
; %bb.2:
	s_load_dwordx4 s[16:19], s[0:1], 0x0
	s_load_dwordx8 s[8:15], s[0:1], 0x28
	s_load_dwordx2 s[2:3], s[0:1], 0x48
	s_mul_i32 s0, s23, s4
	s_mul_hi_u32 s1, s22, s4
	s_add_i32 s1, s1, s0
	s_mul_i32 s0, s22, s4
	s_waitcnt lgkmcnt(0)
	v_mov_b64_e32 v[0:1], s[26:27]
	s_load_dword s26, s[24:25], 0x4
	s_add_u32 s0, s0, s6
	s_addc_u32 s1, s1, 0
	s_mul_i32 s1, s20, s1
	s_mul_hi_u32 s11, s20, s0
	v_lshrrev_b64 v[2:3], 4, v[4:5]
	s_add_i32 s1, s11, s1
	s_mul_i32 s11, s21, s0
	v_and_b32_e32 v4, 15, v4
	v_mov_b32_e32 v5, 0
	s_add_i32 s1, s1, s11
	s_mul_i32 s0, s20, s0
	v_lshlrev_b64 v[6:7], 6, v[2:3]
	v_lshl_add_u64 v[6:7], s[0:1], 1, v[6:7]
	v_lshlrev_b32_e32 v8, 1, v4
	v_mov_b32_e32 v9, v5
	s_waitcnt lgkmcnt(0)
	s_mul_i32 s0, s21, s26
	s_mul_hi_u32 s1, s20, s26
	v_lshl_add_u64 v[6:7], v[6:7], 0, v[8:9]
	s_add_i32 s1, s1, s0
	s_mul_i32 s0, s20, s26
	s_mov_b32 s5, s7
	v_lshl_add_u64 v[6:7], v[6:7], 0, s[18:19]
	s_lshl_b64 s[18:19], s[0:1], 1
	s_mul_i32 s0, s22, s21
	s_mul_hi_u32 s1, s22, s20
	s_add_i32 s0, s1, s0
	s_mul_i32 s1, s23, s20
	v_cmp_lt_i64_e32 vcc, s[4:5], v[0:1]
	s_add_i32 s1, s0, s1
	s_mul_i32 s0, s22, s20
	v_cndmask_b32_e64 v10, 0, 1, vcc
	v_lshl_add_u64 v[6:7], v[6:7], 0, 32
	s_lshl_b64 s[20:21], s[0:1], 1
	s_sub_i32 s27, 0, s10
	v_mov_b64_e32 v[8:9], s[22:23]
	v_cmp_ne_u32_e64 s[0:1], 1, v10
	s_branch .LBB41_4
.LBB41_3:                               ;   in Loop: Header=BB41_4 Depth=1
	s_add_u32 s6, s6, s26
	s_addc_u32 s7, s7, 0
	v_cmp_ge_i64_e32 vcc, s[6:7], v[8:9]
	v_lshl_add_u64 v[6:7], v[6:7], 0, s[18:19]
	s_cbranch_vccnz .LBB41_7
.LBB41_4:                               ; =>This Loop Header: Depth=1
                                        ;     Child Loop BB41_6 Depth 2
	s_and_b64 vcc, exec, s[0:1]
	s_cbranch_vccnz .LBB41_3
; %bb.5:                                ;   in Loop: Header=BB41_4 Depth=1
	s_load_dword s28, s[24:25], 0x8
	s_mul_i32 s10, s6, s13
	s_mul_hi_u32 s11, s6, s12
	s_add_i32 s10, s11, s10
	s_mul_i32 s11, s7, s12
	s_add_i32 s22, s10, s11
	s_mul_i32 s23, s6, s12
	s_waitcnt lgkmcnt(0)
	s_mul_i32 s10, s21, s28
	s_mul_hi_u32 s11, s20, s28
	s_mul_i32 s22, s22, 20
	s_mul_hi_u32 s29, s23, 20
	s_add_i32 s11, s11, s10
	s_mul_i32 s10, s20, s28
	s_add_i32 s29, s29, s22
	s_mul_i32 s30, s23, 20
	v_mov_b64_e32 v[10:11], v[6:7]
	s_mov_b64 s[22:23], s[4:5]
.LBB41_6:                               ;   Parent Loop BB41_4 Depth=1
                                        ; =>  This Inner Loop Header: Depth=2
	s_mul_hi_u32 s31, s8, s22
	s_add_i32 s31, s22, s31
	s_lshr_b32 s31, s31, s9
	s_mul_i32 s33, s27, s31
	s_mul_i32 s34, s31, s3
	s_mul_hi_u32 s35, s31, s2
	s_mul_i32 s31, s31, s2
	s_add_i32 s33, s22, s33
	s_add_i32 s34, s35, s34
	s_mul_hi_u32 s35, s31, 20
	s_mul_i32 s36, s33, s15
	s_mul_hi_u32 s37, s33, s14
	s_mul_i32 s34, s34, 20
	s_mul_i32 s31, s31, 20
	;; [unrolled: 1-line block ×3, first 2 shown]
	s_add_i32 s36, s37, s36
	s_add_i32 s35, s35, s34
	s_mul_hi_u32 s34, s33, 20
	s_add_u32 s31, s16, s31
	s_mul_i32 s36, s36, 20
	s_mul_i32 s33, s33, 20
	s_addc_u32 s35, s17, s35
	s_add_i32 s34, s34, s36
	s_add_u32 s31, s31, s33
	s_addc_u32 s33, s35, s34
	s_add_u32 s34, s31, s30
	s_addc_u32 s35, s33, s29
	v_mad_u64_u32 v[12:13], s[34:35], v2, 20, s[34:35]
	v_mov_b32_e32 v14, v13
	v_mad_u64_u32 v[14:15], s[34:35], v3, 20, v[14:15]
	v_mov_b32_e32 v13, v14
	v_lshl_add_u64 v[14:15], v[12:13], 0, v[4:5]
	global_load_dword v16, v[12:13], off
	global_load_ubyte v17, v[14:15], off offset:4
	s_add_u32 s22, s22, s28
	s_addc_u32 s23, s23, 0
	v_cmp_ge_i64_e32 vcc, s[22:23], v[0:1]
	s_and_b64 vcc, exec, vcc
	s_waitcnt vmcnt(0)
	v_and_b32_e32 v12, 15, v17
	v_lshrrev_b32_e32 v13, 4, v17
	v_cvt_f32_ubyte0_e32 v12, v12
	v_cvt_f32_ubyte0_e32 v13, v13
	v_fma_mixlo_f16 v12, v16, v12, v16 op_sel:[0,0,1] op_sel_hi:[1,0,1]
	v_fma_mixlo_f16 v13, v16, v13, v16 op_sel:[0,0,1] op_sel_hi:[1,0,1]
	global_store_short v[10:11], v12, off offset:-32
	global_store_short v[10:11], v13, off
	v_lshl_add_u64 v[10:11], v[10:11], 0, s[10:11]
	s_cbranch_vccz .LBB41_6
	s_branch .LBB41_3
.LBB41_7:
	s_endpgm
	.section	.rodata,"a",@progbits
	.p2align	6, 0x0
	.amdhsa_kernel _ZL16dequantize_blockILi32ELi2EXadL_ZL15dequantize_q4_1PKvliR15HIP_vector_typeIfLj2EEEE6__halfEvS1_PT2_lllS2_IjLj3EElll
		.amdhsa_group_segment_fixed_size 0
		.amdhsa_private_segment_fixed_size 0
		.amdhsa_kernarg_size 336
		.amdhsa_user_sgpr_count 2
		.amdhsa_user_sgpr_dispatch_ptr 0
		.amdhsa_user_sgpr_queue_ptr 0
		.amdhsa_user_sgpr_kernarg_segment_ptr 1
		.amdhsa_user_sgpr_dispatch_id 0
		.amdhsa_user_sgpr_kernarg_preload_length 0
		.amdhsa_user_sgpr_kernarg_preload_offset 0
		.amdhsa_user_sgpr_private_segment_size 0
		.amdhsa_uses_dynamic_stack 0
		.amdhsa_enable_private_segment 0
		.amdhsa_system_sgpr_workgroup_id_x 1
		.amdhsa_system_sgpr_workgroup_id_y 1
		.amdhsa_system_sgpr_workgroup_id_z 1
		.amdhsa_system_sgpr_workgroup_info 0
		.amdhsa_system_vgpr_workitem_id 0
		.amdhsa_next_free_vgpr 18
		.amdhsa_next_free_sgpr 38
		.amdhsa_accum_offset 20
		.amdhsa_reserve_vcc 1
		.amdhsa_float_round_mode_32 0
		.amdhsa_float_round_mode_16_64 0
		.amdhsa_float_denorm_mode_32 3
		.amdhsa_float_denorm_mode_16_64 3
		.amdhsa_dx10_clamp 1
		.amdhsa_ieee_mode 1
		.amdhsa_fp16_overflow 0
		.amdhsa_tg_split 0
		.amdhsa_exception_fp_ieee_invalid_op 0
		.amdhsa_exception_fp_denorm_src 0
		.amdhsa_exception_fp_ieee_div_zero 0
		.amdhsa_exception_fp_ieee_overflow 0
		.amdhsa_exception_fp_ieee_underflow 0
		.amdhsa_exception_fp_ieee_inexact 0
		.amdhsa_exception_int_div_zero 0
	.end_amdhsa_kernel
	.section	.text._ZL16dequantize_blockILi32ELi2EXadL_ZL15dequantize_q4_1PKvliR15HIP_vector_typeIfLj2EEEE6__halfEvS1_PT2_lllS2_IjLj3EElll,"axG",@progbits,_ZL16dequantize_blockILi32ELi2EXadL_ZL15dequantize_q4_1PKvliR15HIP_vector_typeIfLj2EEEE6__halfEvS1_PT2_lllS2_IjLj3EElll,comdat
.Lfunc_end41:
	.size	_ZL16dequantize_blockILi32ELi2EXadL_ZL15dequantize_q4_1PKvliR15HIP_vector_typeIfLj2EEEE6__halfEvS1_PT2_lllS2_IjLj3EElll, .Lfunc_end41-_ZL16dequantize_blockILi32ELi2EXadL_ZL15dequantize_q4_1PKvliR15HIP_vector_typeIfLj2EEEE6__halfEvS1_PT2_lllS2_IjLj3EElll
                                        ; -- End function
	.section	.AMDGPU.csdata,"",@progbits
; Kernel info:
; codeLenInByte = 696
; NumSgprs: 44
; NumVgprs: 18
; NumAgprs: 0
; TotalNumVgprs: 18
; ScratchSize: 0
; MemoryBound: 0
; FloatMode: 240
; IeeeMode: 1
; LDSByteSize: 0 bytes/workgroup (compile time only)
; SGPRBlocks: 5
; VGPRBlocks: 2
; NumSGPRsForWavesPerEU: 44
; NumVGPRsForWavesPerEU: 18
; AccumOffset: 20
; Occupancy: 8
; WaveLimiterHint : 0
; COMPUTE_PGM_RSRC2:SCRATCH_EN: 0
; COMPUTE_PGM_RSRC2:USER_SGPR: 2
; COMPUTE_PGM_RSRC2:TRAP_HANDLER: 0
; COMPUTE_PGM_RSRC2:TGID_X_EN: 1
; COMPUTE_PGM_RSRC2:TGID_Y_EN: 1
; COMPUTE_PGM_RSRC2:TGID_Z_EN: 1
; COMPUTE_PGM_RSRC2:TIDIG_COMP_CNT: 0
; COMPUTE_PGM_RSRC3_GFX90A:ACCUM_OFFSET: 4
; COMPUTE_PGM_RSRC3_GFX90A:TG_SPLIT: 0
	.section	.text._ZL16dequantize_blockILi32ELi2EXadL_ZL15dequantize_q5_0PKvliR15HIP_vector_typeIfLj2EEEE6__halfEvS1_PT2_lllS2_IjLj3EElll,"axG",@progbits,_ZL16dequantize_blockILi32ELi2EXadL_ZL15dequantize_q5_0PKvliR15HIP_vector_typeIfLj2EEEE6__halfEvS1_PT2_lllS2_IjLj3EElll,comdat
	.globl	_ZL16dequantize_blockILi32ELi2EXadL_ZL15dequantize_q5_0PKvliR15HIP_vector_typeIfLj2EEEE6__halfEvS1_PT2_lllS2_IjLj3EElll ; -- Begin function _ZL16dequantize_blockILi32ELi2EXadL_ZL15dequantize_q5_0PKvliR15HIP_vector_typeIfLj2EEEE6__halfEvS1_PT2_lllS2_IjLj3EElll
	.p2align	8
	.type	_ZL16dequantize_blockILi32ELi2EXadL_ZL15dequantize_q5_0PKvliR15HIP_vector_typeIfLj2EEEE6__halfEvS1_PT2_lllS2_IjLj3EElll,@function
_ZL16dequantize_blockILi32ELi2EXadL_ZL15dequantize_q5_0PKvliR15HIP_vector_typeIfLj2EEEE6__halfEvS1_PT2_lllS2_IjLj3EElll: ; @_ZL16dequantize_blockILi32ELi2EXadL_ZL15dequantize_q5_0PKvliR15HIP_vector_typeIfLj2EEEE6__halfEvS1_PT2_lllS2_IjLj3EElll
; %bb.0:
	s_mov_b32 s6, s3
	s_load_dword s3, s[0:1], 0x5c
	s_load_dwordx4 s[20:23], s[0:1], 0x10
	s_add_u32 s24, s0, 0x50
	s_addc_u32 s25, s1, 0
	v_mov_b32_e32 v1, 0
	s_waitcnt lgkmcnt(0)
	s_and_b32 s3, s3, 0xffff
	v_mov_b32_e32 v2, s2
	v_mad_u64_u32 v[4:5], s[2:3], s3, v2, v[0:1]
	v_lshlrev_b64 v[0:1], 1, v[4:5]
	v_cmp_gt_i64_e32 vcc, s[20:21], v[0:1]
	s_and_saveexec_b64 s[2:3], vcc
	s_cbranch_execz .LBB42_7
; %bb.1:
	s_load_dwordx2 s[26:27], s[0:1], 0x20
	s_mov_b32 s7, 0
	v_mov_b64_e32 v[0:1], s[22:23]
	v_cmp_ge_i64_e32 vcc, s[6:7], v[0:1]
	s_cbranch_vccnz .LBB42_7
; %bb.2:
	s_load_dwordx4 s[16:19], s[0:1], 0x0
	s_load_dwordx8 s[8:15], s[0:1], 0x28
	s_load_dwordx2 s[2:3], s[0:1], 0x48
	s_mul_i32 s0, s23, s4
	s_mul_hi_u32 s1, s22, s4
	s_add_i32 s1, s1, s0
	s_mul_i32 s0, s22, s4
	s_waitcnt lgkmcnt(0)
	v_mov_b64_e32 v[0:1], s[26:27]
	s_load_dword s26, s[24:25], 0x4
	s_add_u32 s0, s0, s6
	s_addc_u32 s1, s1, 0
	s_mul_i32 s1, s20, s1
	s_mul_hi_u32 s11, s20, s0
	v_lshrrev_b64 v[2:3], 4, v[4:5]
	s_add_i32 s1, s11, s1
	s_mul_i32 s11, s21, s0
	v_and_b32_e32 v4, 15, v4
	v_mov_b32_e32 v5, 0
	s_add_i32 s1, s1, s11
	s_mul_i32 s0, s20, s0
	v_lshlrev_b64 v[6:7], 6, v[2:3]
	v_lshl_add_u64 v[6:7], s[0:1], 1, v[6:7]
	v_lshlrev_b32_e32 v8, 1, v4
	v_mov_b32_e32 v9, v5
	s_waitcnt lgkmcnt(0)
	s_mul_i32 s0, s21, s26
	s_mul_hi_u32 s1, s20, s26
	v_lshl_add_u64 v[6:7], v[6:7], 0, v[8:9]
	s_add_i32 s1, s1, s0
	s_mul_i32 s0, s20, s26
	s_mov_b32 s5, s7
	v_lshl_add_u64 v[6:7], v[6:7], 0, s[18:19]
	s_lshl_b64 s[18:19], s[0:1], 1
	s_mul_i32 s0, s22, s21
	s_mul_hi_u32 s1, s22, s20
	s_add_i32 s0, s1, s0
	s_mul_i32 s1, s23, s20
	v_cmp_lt_i64_e32 vcc, s[4:5], v[0:1]
	s_add_i32 s1, s0, s1
	s_mul_i32 s0, s22, s20
	v_cndmask_b32_e64 v10, 0, 1, vcc
	v_add_u32_e32 v12, 12, v4
	v_lshl_add_u64 v[6:7], v[6:7], 0, 32
	s_lshl_b64 s[20:21], s[0:1], 1
	s_sub_i32 s27, 0, s10
	s_mov_b32 s28, 0x1000706
	v_mov_b64_e32 v[8:9], s[22:23]
	v_cmp_ne_u32_e64 s[0:1], 1, v10
	s_branch .LBB42_4
.LBB42_3:                               ;   in Loop: Header=BB42_4 Depth=1
	s_add_u32 s6, s6, s26
	s_addc_u32 s7, s7, 0
	v_cmp_ge_i64_e32 vcc, s[6:7], v[8:9]
	v_lshl_add_u64 v[6:7], v[6:7], 0, s[18:19]
	s_cbranch_vccnz .LBB42_7
.LBB42_4:                               ; =>This Loop Header: Depth=1
                                        ;     Child Loop BB42_6 Depth 2
	s_and_b64 vcc, exec, s[0:1]
	s_cbranch_vccnz .LBB42_3
; %bb.5:                                ;   in Loop: Header=BB42_4 Depth=1
	s_load_dword s29, s[24:25], 0x8
	s_mul_i32 s10, s6, s13
	s_mul_hi_u32 s11, s6, s12
	s_add_i32 s10, s11, s10
	s_mul_i32 s11, s7, s12
	s_add_i32 s22, s10, s11
	s_mul_i32 s23, s6, s12
	s_waitcnt lgkmcnt(0)
	s_mul_i32 s10, s21, s29
	s_mul_hi_u32 s11, s20, s29
	s_mul_i32 s22, s22, 22
	s_mul_hi_u32 s30, s23, 22
	s_add_i32 s11, s11, s10
	s_mul_i32 s10, s20, s29
	s_add_i32 s30, s30, s22
	s_mul_i32 s31, s23, 22
	v_mov_b64_e32 v[10:11], v[6:7]
	s_mov_b64 s[22:23], s[4:5]
.LBB42_6:                               ;   Parent Loop BB42_4 Depth=1
                                        ; =>  This Inner Loop Header: Depth=2
	s_mul_hi_u32 s33, s8, s22
	s_add_i32 s33, s22, s33
	s_lshr_b32 s33, s33, s9
	s_mul_i32 s34, s27, s33
	s_mul_i32 s35, s33, s3
	s_mul_hi_u32 s36, s33, s2
	s_mul_i32 s33, s33, s2
	s_add_i32 s34, s22, s34
	s_add_i32 s35, s36, s35
	s_mul_hi_u32 s36, s33, 22
	s_mul_i32 s37, s34, s15
	s_mul_hi_u32 s38, s34, s14
	s_mul_i32 s35, s35, 22
	s_mul_i32 s33, s33, 22
	;; [unrolled: 1-line block ×3, first 2 shown]
	s_add_i32 s37, s38, s37
	s_add_i32 s36, s36, s35
	s_mul_hi_u32 s35, s34, 22
	s_add_u32 s33, s16, s33
	s_mul_i32 s37, s37, 22
	s_mul_i32 s34, s34, 22
	s_addc_u32 s36, s17, s36
	s_add_i32 s35, s35, s37
	s_add_u32 s33, s33, s34
	s_addc_u32 s35, s36, s35
	s_add_u32 s34, s33, s31
	s_addc_u32 s35, s35, s30
	v_mad_u64_u32 v[14:15], s[34:35], v2, 22, s[34:35]
	v_mov_b32_e32 v16, v15
	v_mad_u64_u32 v[16:17], s[34:35], v3, 22, v[16:17]
	v_mov_b32_e32 v15, v16
	global_load_ushort v13, v[14:15], off offset:4
	global_load_dword v16, v[14:15], off
	v_lshl_add_u64 v[14:15], v[14:15], 0, v[4:5]
	global_load_ubyte v14, v[14:15], off offset:6
	s_add_u32 s22, s22, s29
	s_addc_u32 s23, s23, 0
	v_cmp_ge_i64_e32 vcc, s[22:23], v[0:1]
	s_and_b64 vcc, exec, vcc
	s_waitcnt vmcnt(1)
	v_perm_b32 v13, v16, v13, s28
	v_lshrrev_b32_e32 v15, v4, v13
	v_lshrrev_b32_e32 v13, v12, v13
	s_waitcnt vmcnt(0)
	v_lshrrev_b16_e32 v17, 4, v14
	v_lshlrev_b32_e32 v15, 4, v15
	v_and_b32_e32 v13, 16, v13
	v_or_b32_e32 v17, -16, v17
	v_or_b32_e32 v14, -16, v14
	v_and_b32_e32 v15, 16, v15
	v_add_u32_sdwa v13, v13, sext(v17) dst_sel:DWORD dst_unused:UNUSED_PAD src0_sel:DWORD src1_sel:WORD_0
	v_add_u32_e32 v14, v14, v15
	v_cvt_f32_i32_e32 v13, v13
	v_cvt_f32_i32_e32 v14, v14
	v_fma_mixlo_f16 v13, v16, v13, 0 op_sel_hi:[1,0,0]
	v_fma_mixlo_f16 v14, v16, v14, 0 op_sel_hi:[1,0,0]
	global_store_short v[10:11], v13, off
	global_store_short v[10:11], v14, off offset:-32
	v_lshl_add_u64 v[10:11], v[10:11], 0, s[10:11]
	s_cbranch_vccz .LBB42_6
	s_branch .LBB42_3
.LBB42_7:
	s_endpgm
	.section	.rodata,"a",@progbits
	.p2align	6, 0x0
	.amdhsa_kernel _ZL16dequantize_blockILi32ELi2EXadL_ZL15dequantize_q5_0PKvliR15HIP_vector_typeIfLj2EEEE6__halfEvS1_PT2_lllS2_IjLj3EElll
		.amdhsa_group_segment_fixed_size 0
		.amdhsa_private_segment_fixed_size 0
		.amdhsa_kernarg_size 336
		.amdhsa_user_sgpr_count 2
		.amdhsa_user_sgpr_dispatch_ptr 0
		.amdhsa_user_sgpr_queue_ptr 0
		.amdhsa_user_sgpr_kernarg_segment_ptr 1
		.amdhsa_user_sgpr_dispatch_id 0
		.amdhsa_user_sgpr_kernarg_preload_length 0
		.amdhsa_user_sgpr_kernarg_preload_offset 0
		.amdhsa_user_sgpr_private_segment_size 0
		.amdhsa_uses_dynamic_stack 0
		.amdhsa_enable_private_segment 0
		.amdhsa_system_sgpr_workgroup_id_x 1
		.amdhsa_system_sgpr_workgroup_id_y 1
		.amdhsa_system_sgpr_workgroup_id_z 1
		.amdhsa_system_sgpr_workgroup_info 0
		.amdhsa_system_vgpr_workitem_id 0
		.amdhsa_next_free_vgpr 18
		.amdhsa_next_free_sgpr 39
		.amdhsa_accum_offset 20
		.amdhsa_reserve_vcc 1
		.amdhsa_float_round_mode_32 0
		.amdhsa_float_round_mode_16_64 0
		.amdhsa_float_denorm_mode_32 3
		.amdhsa_float_denorm_mode_16_64 3
		.amdhsa_dx10_clamp 1
		.amdhsa_ieee_mode 1
		.amdhsa_fp16_overflow 0
		.amdhsa_tg_split 0
		.amdhsa_exception_fp_ieee_invalid_op 0
		.amdhsa_exception_fp_denorm_src 0
		.amdhsa_exception_fp_ieee_div_zero 0
		.amdhsa_exception_fp_ieee_overflow 0
		.amdhsa_exception_fp_ieee_underflow 0
		.amdhsa_exception_fp_ieee_inexact 0
		.amdhsa_exception_int_div_zero 0
	.end_amdhsa_kernel
	.section	.text._ZL16dequantize_blockILi32ELi2EXadL_ZL15dequantize_q5_0PKvliR15HIP_vector_typeIfLj2EEEE6__halfEvS1_PT2_lllS2_IjLj3EElll,"axG",@progbits,_ZL16dequantize_blockILi32ELi2EXadL_ZL15dequantize_q5_0PKvliR15HIP_vector_typeIfLj2EEEE6__halfEvS1_PT2_lllS2_IjLj3EElll,comdat
.Lfunc_end42:
	.size	_ZL16dequantize_blockILi32ELi2EXadL_ZL15dequantize_q5_0PKvliR15HIP_vector_typeIfLj2EEEE6__halfEvS1_PT2_lllS2_IjLj3EElll, .Lfunc_end42-_ZL16dequantize_blockILi32ELi2EXadL_ZL15dequantize_q5_0PKvliR15HIP_vector_typeIfLj2EEEE6__halfEvS1_PT2_lllS2_IjLj3EElll
                                        ; -- End function
	.section	.AMDGPU.csdata,"",@progbits
; Kernel info:
; codeLenInByte = 764
; NumSgprs: 45
; NumVgprs: 18
; NumAgprs: 0
; TotalNumVgprs: 18
; ScratchSize: 0
; MemoryBound: 0
; FloatMode: 240
; IeeeMode: 1
; LDSByteSize: 0 bytes/workgroup (compile time only)
; SGPRBlocks: 5
; VGPRBlocks: 2
; NumSGPRsForWavesPerEU: 45
; NumVGPRsForWavesPerEU: 18
; AccumOffset: 20
; Occupancy: 8
; WaveLimiterHint : 0
; COMPUTE_PGM_RSRC2:SCRATCH_EN: 0
; COMPUTE_PGM_RSRC2:USER_SGPR: 2
; COMPUTE_PGM_RSRC2:TRAP_HANDLER: 0
; COMPUTE_PGM_RSRC2:TGID_X_EN: 1
; COMPUTE_PGM_RSRC2:TGID_Y_EN: 1
; COMPUTE_PGM_RSRC2:TGID_Z_EN: 1
; COMPUTE_PGM_RSRC2:TIDIG_COMP_CNT: 0
; COMPUTE_PGM_RSRC3_GFX90A:ACCUM_OFFSET: 4
; COMPUTE_PGM_RSRC3_GFX90A:TG_SPLIT: 0
	.section	.text._ZL16dequantize_blockILi32ELi2EXadL_ZL15dequantize_q5_1PKvliR15HIP_vector_typeIfLj2EEEE6__halfEvS1_PT2_lllS2_IjLj3EElll,"axG",@progbits,_ZL16dequantize_blockILi32ELi2EXadL_ZL15dequantize_q5_1PKvliR15HIP_vector_typeIfLj2EEEE6__halfEvS1_PT2_lllS2_IjLj3EElll,comdat
	.globl	_ZL16dequantize_blockILi32ELi2EXadL_ZL15dequantize_q5_1PKvliR15HIP_vector_typeIfLj2EEEE6__halfEvS1_PT2_lllS2_IjLj3EElll ; -- Begin function _ZL16dequantize_blockILi32ELi2EXadL_ZL15dequantize_q5_1PKvliR15HIP_vector_typeIfLj2EEEE6__halfEvS1_PT2_lllS2_IjLj3EElll
	.p2align	8
	.type	_ZL16dequantize_blockILi32ELi2EXadL_ZL15dequantize_q5_1PKvliR15HIP_vector_typeIfLj2EEEE6__halfEvS1_PT2_lllS2_IjLj3EElll,@function
_ZL16dequantize_blockILi32ELi2EXadL_ZL15dequantize_q5_1PKvliR15HIP_vector_typeIfLj2EEEE6__halfEvS1_PT2_lllS2_IjLj3EElll: ; @_ZL16dequantize_blockILi32ELi2EXadL_ZL15dequantize_q5_1PKvliR15HIP_vector_typeIfLj2EEEE6__halfEvS1_PT2_lllS2_IjLj3EElll
; %bb.0:
	s_mov_b32 s6, s3
	s_load_dword s3, s[0:1], 0x5c
	s_load_dwordx4 s[20:23], s[0:1], 0x10
	s_add_u32 s24, s0, 0x50
	s_addc_u32 s25, s1, 0
	v_mov_b32_e32 v1, 0
	s_waitcnt lgkmcnt(0)
	s_and_b32 s3, s3, 0xffff
	v_mov_b32_e32 v2, s2
	v_mad_u64_u32 v[4:5], s[2:3], s3, v2, v[0:1]
	v_lshlrev_b64 v[0:1], 1, v[4:5]
	v_cmp_gt_i64_e32 vcc, s[20:21], v[0:1]
	s_and_saveexec_b64 s[2:3], vcc
	s_cbranch_execz .LBB43_7
; %bb.1:
	s_load_dwordx2 s[26:27], s[0:1], 0x20
	s_mov_b32 s7, 0
	v_mov_b64_e32 v[0:1], s[22:23]
	v_cmp_ge_i64_e32 vcc, s[6:7], v[0:1]
	s_cbranch_vccnz .LBB43_7
; %bb.2:
	s_load_dwordx4 s[16:19], s[0:1], 0x0
	s_load_dwordx8 s[8:15], s[0:1], 0x28
	s_load_dwordx2 s[2:3], s[0:1], 0x48
	s_mul_i32 s0, s23, s4
	s_mul_hi_u32 s1, s22, s4
	s_add_i32 s1, s1, s0
	s_mul_i32 s0, s22, s4
	s_waitcnt lgkmcnt(0)
	v_mov_b64_e32 v[0:1], s[26:27]
	s_load_dword s26, s[24:25], 0x4
	s_add_u32 s0, s0, s6
	s_addc_u32 s1, s1, 0
	s_mul_i32 s1, s20, s1
	s_mul_hi_u32 s11, s20, s0
	v_lshrrev_b64 v[2:3], 4, v[4:5]
	s_add_i32 s1, s11, s1
	s_mul_i32 s11, s21, s0
	v_and_b32_e32 v4, 15, v4
	v_mov_b32_e32 v5, 0
	s_add_i32 s1, s1, s11
	s_mul_i32 s0, s20, s0
	v_lshlrev_b64 v[6:7], 6, v[2:3]
	v_lshl_add_u64 v[6:7], s[0:1], 1, v[6:7]
	v_lshlrev_b32_e32 v8, 1, v4
	v_mov_b32_e32 v9, v5
	s_waitcnt lgkmcnt(0)
	s_mul_i32 s0, s21, s26
	s_mul_hi_u32 s1, s20, s26
	v_lshl_add_u64 v[6:7], v[6:7], 0, v[8:9]
	s_add_i32 s1, s1, s0
	s_mul_i32 s0, s20, s26
	s_mov_b32 s5, s7
	v_lshl_add_u64 v[6:7], v[6:7], 0, s[18:19]
	s_lshl_b64 s[18:19], s[0:1], 1
	s_mul_i32 s0, s22, s21
	s_mul_hi_u32 s1, s22, s20
	s_add_i32 s0, s1, s0
	s_mul_i32 s1, s23, s20
	v_cmp_lt_i64_e32 vcc, s[4:5], v[0:1]
	s_add_i32 s1, s0, s1
	s_mul_i32 s0, s22, s20
	v_cndmask_b32_e64 v10, 0, 1, vcc
	v_add_u32_e32 v12, 12, v4
	v_lshl_add_u64 v[6:7], v[6:7], 0, 32
	s_lshl_b64 s[20:21], s[0:1], 1
	s_sub_i32 s27, 0, s10
	v_mov_b64_e32 v[8:9], s[22:23]
	v_cmp_ne_u32_e64 s[0:1], 1, v10
	s_branch .LBB43_4
.LBB43_3:                               ;   in Loop: Header=BB43_4 Depth=1
	s_add_u32 s6, s6, s26
	s_addc_u32 s7, s7, 0
	v_cmp_ge_i64_e32 vcc, s[6:7], v[8:9]
	v_lshl_add_u64 v[6:7], v[6:7], 0, s[18:19]
	s_cbranch_vccnz .LBB43_7
.LBB43_4:                               ; =>This Loop Header: Depth=1
                                        ;     Child Loop BB43_6 Depth 2
	s_and_b64 vcc, exec, s[0:1]
	s_cbranch_vccnz .LBB43_3
; %bb.5:                                ;   in Loop: Header=BB43_4 Depth=1
	s_load_dword s28, s[24:25], 0x8
	s_mul_i32 s10, s6, s13
	s_mul_hi_u32 s11, s6, s12
	s_add_i32 s10, s11, s10
	s_mul_i32 s11, s7, s12
	s_add_i32 s22, s10, s11
	s_mul_i32 s23, s6, s12
	s_waitcnt lgkmcnt(0)
	s_mul_i32 s10, s21, s28
	s_mul_hi_u32 s11, s20, s28
	s_mul_i32 s22, s22, 24
	s_mul_hi_u32 s29, s23, 24
	s_add_i32 s11, s11, s10
	s_mul_i32 s10, s20, s28
	s_add_i32 s29, s29, s22
	s_mul_i32 s30, s23, 24
	v_mov_b64_e32 v[10:11], v[6:7]
	s_mov_b64 s[22:23], s[4:5]
.LBB43_6:                               ;   Parent Loop BB43_4 Depth=1
                                        ; =>  This Inner Loop Header: Depth=2
	s_mul_hi_u32 s31, s8, s22
	s_add_i32 s31, s22, s31
	s_lshr_b32 s31, s31, s9
	s_mul_i32 s33, s27, s31
	s_mul_i32 s34, s31, s3
	s_mul_hi_u32 s35, s31, s2
	s_mul_i32 s31, s31, s2
	s_add_i32 s33, s22, s33
	s_add_i32 s34, s35, s34
	s_mul_hi_u32 s35, s31, 24
	s_mul_i32 s36, s33, s15
	s_mul_hi_u32 s37, s33, s14
	s_mul_i32 s34, s34, 24
	s_mul_i32 s31, s31, 24
	s_mul_i32 s33, s33, s14
	s_add_i32 s36, s37, s36
	s_add_i32 s35, s35, s34
	s_mul_hi_u32 s34, s33, 24
	s_add_u32 s31, s16, s31
	s_mul_i32 s36, s36, 24
	s_mul_i32 s33, s33, 24
	s_addc_u32 s35, s17, s35
	s_add_i32 s34, s34, s36
	s_add_u32 s31, s31, s33
	s_addc_u32 s33, s35, s34
	s_add_u32 s34, s31, s30
	s_addc_u32 s35, s33, s29
	v_mad_u64_u32 v[14:15], s[34:35], v2, 24, s[34:35]
	v_mov_b32_e32 v16, v15
	v_mad_u64_u32 v[16:17], s[34:35], v3, 24, v[16:17]
	v_mov_b32_e32 v15, v16
	global_load_ushort v13, v[14:15], off offset:6
	global_load_ushort v18, v[14:15], off offset:4
	v_lshl_add_u64 v[16:17], v[14:15], 0, v[4:5]
	global_load_dword v19, v[14:15], off
	global_load_ubyte v20, v[16:17], off offset:8
	s_add_u32 s22, s22, s28
	s_addc_u32 s23, s23, 0
	v_cmp_ge_i64_e32 vcc, s[22:23], v[0:1]
	s_and_b64 vcc, exec, vcc
	s_waitcnt vmcnt(3)
	v_lshrrev_b16_e32 v14, 8, v13
	v_and_b32_e32 v13, 0xff, v13
	v_lshlrev_b32_e32 v14, 24, v14
	v_lshlrev_b32_e32 v13, 16, v13
	s_waitcnt vmcnt(2)
	v_or3_b32 v13, v13, v18, v14
	s_waitcnt vmcnt(0)
	v_lshrrev_b16_e32 v16, 4, v20
	v_lshrrev_b32_e32 v14, v4, v13
	v_lshrrev_b32_e32 v13, v12, v13
	v_and_b32_e32 v15, 15, v20
	v_lshlrev_b32_e32 v14, 4, v14
	v_and_or_b32 v13, v13, 16, v16
	v_and_or_b32 v14, v14, 16, v15
	v_cvt_f32_ubyte0_e32 v13, v13
	v_cvt_f32_ubyte0_e32 v14, v14
	v_fma_mixlo_f16 v13, v19, v13, v19 op_sel:[0,0,1] op_sel_hi:[1,0,1]
	v_fma_mixlo_f16 v14, v19, v14, v19 op_sel:[0,0,1] op_sel_hi:[1,0,1]
	global_store_short v[10:11], v13, off
	global_store_short v[10:11], v14, off offset:-32
	v_lshl_add_u64 v[10:11], v[10:11], 0, s[10:11]
	s_cbranch_vccz .LBB43_6
	s_branch .LBB43_3
.LBB43_7:
	s_endpgm
	.section	.rodata,"a",@progbits
	.p2align	6, 0x0
	.amdhsa_kernel _ZL16dequantize_blockILi32ELi2EXadL_ZL15dequantize_q5_1PKvliR15HIP_vector_typeIfLj2EEEE6__halfEvS1_PT2_lllS2_IjLj3EElll
		.amdhsa_group_segment_fixed_size 0
		.amdhsa_private_segment_fixed_size 0
		.amdhsa_kernarg_size 336
		.amdhsa_user_sgpr_count 2
		.amdhsa_user_sgpr_dispatch_ptr 0
		.amdhsa_user_sgpr_queue_ptr 0
		.amdhsa_user_sgpr_kernarg_segment_ptr 1
		.amdhsa_user_sgpr_dispatch_id 0
		.amdhsa_user_sgpr_kernarg_preload_length 0
		.amdhsa_user_sgpr_kernarg_preload_offset 0
		.amdhsa_user_sgpr_private_segment_size 0
		.amdhsa_uses_dynamic_stack 0
		.amdhsa_enable_private_segment 0
		.amdhsa_system_sgpr_workgroup_id_x 1
		.amdhsa_system_sgpr_workgroup_id_y 1
		.amdhsa_system_sgpr_workgroup_id_z 1
		.amdhsa_system_sgpr_workgroup_info 0
		.amdhsa_system_vgpr_workitem_id 0
		.amdhsa_next_free_vgpr 21
		.amdhsa_next_free_sgpr 38
		.amdhsa_accum_offset 24
		.amdhsa_reserve_vcc 1
		.amdhsa_float_round_mode_32 0
		.amdhsa_float_round_mode_16_64 0
		.amdhsa_float_denorm_mode_32 3
		.amdhsa_float_denorm_mode_16_64 3
		.amdhsa_dx10_clamp 1
		.amdhsa_ieee_mode 1
		.amdhsa_fp16_overflow 0
		.amdhsa_tg_split 0
		.amdhsa_exception_fp_ieee_invalid_op 0
		.amdhsa_exception_fp_denorm_src 0
		.amdhsa_exception_fp_ieee_div_zero 0
		.amdhsa_exception_fp_ieee_overflow 0
		.amdhsa_exception_fp_ieee_underflow 0
		.amdhsa_exception_fp_ieee_inexact 0
		.amdhsa_exception_int_div_zero 0
	.end_amdhsa_kernel
	.section	.text._ZL16dequantize_blockILi32ELi2EXadL_ZL15dequantize_q5_1PKvliR15HIP_vector_typeIfLj2EEEE6__halfEvS1_PT2_lllS2_IjLj3EElll,"axG",@progbits,_ZL16dequantize_blockILi32ELi2EXadL_ZL15dequantize_q5_1PKvliR15HIP_vector_typeIfLj2EEEE6__halfEvS1_PT2_lllS2_IjLj3EElll,comdat
.Lfunc_end43:
	.size	_ZL16dequantize_blockILi32ELi2EXadL_ZL15dequantize_q5_1PKvliR15HIP_vector_typeIfLj2EEEE6__halfEvS1_PT2_lllS2_IjLj3EElll, .Lfunc_end43-_ZL16dequantize_blockILi32ELi2EXadL_ZL15dequantize_q5_1PKvliR15HIP_vector_typeIfLj2EEEE6__halfEvS1_PT2_lllS2_IjLj3EElll
                                        ; -- End function
	.section	.AMDGPU.csdata,"",@progbits
; Kernel info:
; codeLenInByte = 780
; NumSgprs: 44
; NumVgprs: 21
; NumAgprs: 0
; TotalNumVgprs: 21
; ScratchSize: 0
; MemoryBound: 0
; FloatMode: 240
; IeeeMode: 1
; LDSByteSize: 0 bytes/workgroup (compile time only)
; SGPRBlocks: 5
; VGPRBlocks: 2
; NumSGPRsForWavesPerEU: 44
; NumVGPRsForWavesPerEU: 21
; AccumOffset: 24
; Occupancy: 8
; WaveLimiterHint : 0
; COMPUTE_PGM_RSRC2:SCRATCH_EN: 0
; COMPUTE_PGM_RSRC2:USER_SGPR: 2
; COMPUTE_PGM_RSRC2:TRAP_HANDLER: 0
; COMPUTE_PGM_RSRC2:TGID_X_EN: 1
; COMPUTE_PGM_RSRC2:TGID_Y_EN: 1
; COMPUTE_PGM_RSRC2:TGID_Z_EN: 1
; COMPUTE_PGM_RSRC2:TIDIG_COMP_CNT: 0
; COMPUTE_PGM_RSRC3_GFX90A:ACCUM_OFFSET: 5
; COMPUTE_PGM_RSRC3_GFX90A:TG_SPLIT: 0
	.section	.text._ZL16dequantize_blockILi32ELi1EXadL_ZL15dequantize_q8_0PKvliR15HIP_vector_typeIfLj2EEEE6__halfEvS1_PT2_lllS2_IjLj3EElll,"axG",@progbits,_ZL16dequantize_blockILi32ELi1EXadL_ZL15dequantize_q8_0PKvliR15HIP_vector_typeIfLj2EEEE6__halfEvS1_PT2_lllS2_IjLj3EElll,comdat
	.globl	_ZL16dequantize_blockILi32ELi1EXadL_ZL15dequantize_q8_0PKvliR15HIP_vector_typeIfLj2EEEE6__halfEvS1_PT2_lllS2_IjLj3EElll ; -- Begin function _ZL16dequantize_blockILi32ELi1EXadL_ZL15dequantize_q8_0PKvliR15HIP_vector_typeIfLj2EEEE6__halfEvS1_PT2_lllS2_IjLj3EElll
	.p2align	8
	.type	_ZL16dequantize_blockILi32ELi1EXadL_ZL15dequantize_q8_0PKvliR15HIP_vector_typeIfLj2EEEE6__halfEvS1_PT2_lllS2_IjLj3EElll,@function
_ZL16dequantize_blockILi32ELi1EXadL_ZL15dequantize_q8_0PKvliR15HIP_vector_typeIfLj2EEEE6__halfEvS1_PT2_lllS2_IjLj3EElll: ; @_ZL16dequantize_blockILi32ELi1EXadL_ZL15dequantize_q8_0PKvliR15HIP_vector_typeIfLj2EEEE6__halfEvS1_PT2_lllS2_IjLj3EElll
; %bb.0:
	s_mov_b32 s6, s3
	s_load_dword s3, s[0:1], 0x5c
	s_load_dwordx4 s[20:23], s[0:1], 0x10
	s_add_u32 s24, s0, 0x50
	s_addc_u32 s25, s1, 0
	v_mov_b32_e32 v1, 0
	s_waitcnt lgkmcnt(0)
	s_and_b32 s5, s3, 0xffff
	v_mov_b32_e32 v2, s2
	v_mad_u64_u32 v[4:5], s[8:9], s5, v2, v[0:1]
	v_lshlrev_b64 v[6:7], 1, v[4:5]
	v_cmp_gt_i64_e32 vcc, s[20:21], v[6:7]
	s_and_saveexec_b64 s[8:9], vcc
	s_cbranch_execz .LBB44_7
; %bb.1:
	s_load_dwordx2 s[28:29], s[0:1], 0x20
	s_mov_b32 s7, 0
	v_mov_b64_e32 v[2:3], s[22:23]
	v_cmp_ge_i64_e32 vcc, s[6:7], v[2:3]
	s_cbranch_vccnz .LBB44_7
; %bb.2:
	s_load_dwordx4 s[16:19], s[0:1], 0x0
	s_load_dwordx8 s[8:15], s[0:1], 0x28
	s_load_dwordx2 s[26:27], s[0:1], 0x48
	s_mul_i32 s0, s23, s4
	s_mul_hi_u32 s1, s22, s4
	s_add_i32 s1, s1, s0
	s_mul_i32 s0, s22, s4
	s_waitcnt lgkmcnt(0)
	v_mov_b64_e32 v[2:3], s[28:29]
	s_load_dword s28, s[24:25], 0x4
	s_add_u32 s0, s0, s6
	s_addc_u32 s1, s1, 0
	s_mul_i32 s1, s20, s1
	s_mul_hi_u32 s11, s20, s0
	v_lshrrev_b64 v[4:5], 4, v[4:5]
	s_add_i32 s1, s11, s1
	s_mul_i32 s11, s21, s0
	s_add_i32 s1, s1, s11
	s_mul_i32 s0, s20, s0
	v_lshlrev_b64 v[8:9], 6, v[4:5]
	v_lshl_add_u64 v[8:9], s[0:1], 1, v[8:9]
	v_mov_b32_e32 v1, s3
	s_waitcnt lgkmcnt(0)
	s_mul_i32 s0, s21, s28
	s_mul_hi_u32 s1, s20, s28
	v_mad_legacy_u16 v0, s2, v1, v0
	s_add_i32 s1, s1, s0
	s_mul_i32 s0, s20, s28
	s_mov_b32 s5, s7
	v_mov_b32_e32 v7, 0
	v_and_b32_e32 v0, 15, v0
	s_lshl_b64 s[2:3], s[0:1], 1
	s_mul_i32 s0, s22, s21
	s_mul_hi_u32 s1, s22, s20
	v_lshlrev_b32_e32 v0, 2, v0
	v_mov_b32_e32 v1, v7
	s_add_i32 s0, s1, s0
	s_mul_i32 s1, s23, s20
	v_cmp_lt_i64_e32 vcc, s[4:5], v[2:3]
	v_lshl_add_u64 v[0:1], v[8:9], 0, v[0:1]
	s_add_i32 s1, s0, s1
	s_mul_i32 s0, s22, s20
	v_cndmask_b32_e64 v10, 0, 1, vcc
	v_and_b32_e32 v6, 30, v6
	v_lshl_add_u64 v[0:1], s[18:19], 0, v[0:1]
	s_lshl_b64 s[18:19], s[0:1], 1
	s_sub_i32 s29, 0, s10
	v_mov_b64_e32 v[8:9], s[22:23]
	v_cmp_ne_u32_e64 s[0:1], 1, v10
	s_branch .LBB44_4
.LBB44_3:                               ;   in Loop: Header=BB44_4 Depth=1
	s_add_u32 s6, s6, s28
	s_addc_u32 s7, s7, 0
	v_cmp_ge_i64_e32 vcc, s[6:7], v[8:9]
	v_lshl_add_u64 v[0:1], v[0:1], 0, s[2:3]
	s_cbranch_vccnz .LBB44_7
.LBB44_4:                               ; =>This Loop Header: Depth=1
                                        ;     Child Loop BB44_6 Depth 2
	s_and_b64 vcc, exec, s[0:1]
	s_cbranch_vccnz .LBB44_3
; %bb.5:                                ;   in Loop: Header=BB44_4 Depth=1
	s_load_dword s22, s[24:25], 0x8
	s_mul_i32 s10, s6, s13
	s_mul_hi_u32 s11, s6, s12
	s_add_i32 s10, s11, s10
	s_mul_i32 s11, s7, s12
	s_add_i32 s20, s10, s11
	s_waitcnt lgkmcnt(0)
	s_mul_i32 s10, s19, s22
	s_mul_hi_u32 s11, s18, s22
	s_mul_i32 s23, s6, s12
	s_add_i32 s11, s11, s10
	s_mul_i32 s10, s18, s22
	s_mul_i32 s30, s20, 34
	v_mov_b64_e32 v[10:11], v[0:1]
	s_mov_b64 s[20:21], s[4:5]
.LBB44_6:                               ;   Parent Loop BB44_4 Depth=1
                                        ; =>  This Inner Loop Header: Depth=2
	s_mul_hi_u32 s31, s8, s20
	s_add_i32 s31, s20, s31
	s_lshr_b32 s31, s31, s9
	s_mul_i32 s35, s29, s31
	s_mul_i32 s36, s31, s27
	s_mul_hi_u32 s37, s31, s26
	s_mul_i32 s31, s31, s26
	s_add_i32 s35, s20, s35
	s_add_i32 s36, s37, s36
	s_mul_hi_u32 s37, s31, 34
	s_mul_i32 s38, s35, s15
	s_mul_hi_u32 s39, s35, s14
	s_mul_i32 s36, s36, 34
	s_mul_i32 s31, s31, 34
	;; [unrolled: 1-line block ×3, first 2 shown]
	s_add_i32 s38, s39, s38
	s_add_i32 s37, s37, s36
	s_mul_hi_u32 s36, s35, 34
	s_add_u32 s31, s16, s31
	s_mul_i32 s38, s38, 34
	s_mul_i32 s35, s35, 34
	s_addc_u32 s37, s17, s37
	s_add_i32 s36, s36, s38
	s_mul_hi_u32 s33, s23, 34
	s_add_u32 s31, s31, s35
	s_mul_i32 s34, s23, 34
	s_addc_u32 s35, s37, s36
	s_add_i32 s33, s33, s30
	s_add_u32 s34, s31, s34
	s_addc_u32 s35, s35, s33
	v_mad_u64_u32 v[12:13], s[34:35], v4, 34, s[34:35]
	v_mov_b32_e32 v14, v13
	v_mad_u64_u32 v[14:15], s[34:35], v5, 34, v[14:15]
	v_mov_b32_e32 v13, v14
	v_lshl_add_u64 v[14:15], v[12:13], 0, v[6:7]
	global_load_ushort v16, v[12:13], off
	global_load_ushort v17, v[14:15], off offset:2
	s_add_u32 s20, s20, s22
	s_addc_u32 s21, s21, 0
	v_cmp_ge_i64_e32 vcc, s[20:21], v[2:3]
	s_and_b64 vcc, exec, vcc
	s_waitcnt vmcnt(1)
	v_cvt_f32_f16_e32 v12, v16
	s_waitcnt vmcnt(0)
	v_bfe_i32 v13, v17, 0, 8
	v_ashrrev_i16_e32 v14, 8, v17
	v_cvt_f32_i32_sdwa v15, sext(v14) dst_sel:DWORD dst_unused:UNUSED_PAD src0_sel:WORD_0
	v_cvt_f32_i32_sdwa v14, sext(v13) dst_sel:DWORD dst_unused:UNUSED_PAD src0_sel:WORD_0
	v_pk_mul_f32 v[12:13], v[12:13], v[14:15] op_sel_hi:[0,1]
	v_cvt_f16_f32_e32 v13, v13
	v_cvt_f16_f32_e32 v12, v12
	v_pack_b32_f16 v12, v12, v13
	global_store_dword v[10:11], v12, off
	v_lshl_add_u64 v[10:11], v[10:11], 0, s[10:11]
	s_cbranch_vccz .LBB44_6
	s_branch .LBB44_3
.LBB44_7:
	s_endpgm
	.section	.rodata,"a",@progbits
	.p2align	6, 0x0
	.amdhsa_kernel _ZL16dequantize_blockILi32ELi1EXadL_ZL15dequantize_q8_0PKvliR15HIP_vector_typeIfLj2EEEE6__halfEvS1_PT2_lllS2_IjLj3EElll
		.amdhsa_group_segment_fixed_size 0
		.amdhsa_private_segment_fixed_size 0
		.amdhsa_kernarg_size 336
		.amdhsa_user_sgpr_count 2
		.amdhsa_user_sgpr_dispatch_ptr 0
		.amdhsa_user_sgpr_queue_ptr 0
		.amdhsa_user_sgpr_kernarg_segment_ptr 1
		.amdhsa_user_sgpr_dispatch_id 0
		.amdhsa_user_sgpr_kernarg_preload_length 0
		.amdhsa_user_sgpr_kernarg_preload_offset 0
		.amdhsa_user_sgpr_private_segment_size 0
		.amdhsa_uses_dynamic_stack 0
		.amdhsa_enable_private_segment 0
		.amdhsa_system_sgpr_workgroup_id_x 1
		.amdhsa_system_sgpr_workgroup_id_y 1
		.amdhsa_system_sgpr_workgroup_id_z 1
		.amdhsa_system_sgpr_workgroup_info 0
		.amdhsa_system_vgpr_workitem_id 0
		.amdhsa_next_free_vgpr 18
		.amdhsa_next_free_sgpr 40
		.amdhsa_accum_offset 20
		.amdhsa_reserve_vcc 1
		.amdhsa_float_round_mode_32 0
		.amdhsa_float_round_mode_16_64 0
		.amdhsa_float_denorm_mode_32 3
		.amdhsa_float_denorm_mode_16_64 3
		.amdhsa_dx10_clamp 1
		.amdhsa_ieee_mode 1
		.amdhsa_fp16_overflow 0
		.amdhsa_tg_split 0
		.amdhsa_exception_fp_ieee_invalid_op 0
		.amdhsa_exception_fp_denorm_src 0
		.amdhsa_exception_fp_ieee_div_zero 0
		.amdhsa_exception_fp_ieee_overflow 0
		.amdhsa_exception_fp_ieee_underflow 0
		.amdhsa_exception_fp_ieee_inexact 0
		.amdhsa_exception_int_div_zero 0
	.end_amdhsa_kernel
	.section	.text._ZL16dequantize_blockILi32ELi1EXadL_ZL15dequantize_q8_0PKvliR15HIP_vector_typeIfLj2EEEE6__halfEvS1_PT2_lllS2_IjLj3EElll,"axG",@progbits,_ZL16dequantize_blockILi32ELi1EXadL_ZL15dequantize_q8_0PKvliR15HIP_vector_typeIfLj2EEEE6__halfEvS1_PT2_lllS2_IjLj3EElll,comdat
.Lfunc_end44:
	.size	_ZL16dequantize_blockILi32ELi1EXadL_ZL15dequantize_q8_0PKvliR15HIP_vector_typeIfLj2EEEE6__halfEvS1_PT2_lllS2_IjLj3EElll, .Lfunc_end44-_ZL16dequantize_blockILi32ELi1EXadL_ZL15dequantize_q8_0PKvliR15HIP_vector_typeIfLj2EEEE6__halfEvS1_PT2_lllS2_IjLj3EElll
                                        ; -- End function
	.section	.AMDGPU.csdata,"",@progbits
; Kernel info:
; codeLenInByte = 724
; NumSgprs: 46
; NumVgprs: 18
; NumAgprs: 0
; TotalNumVgprs: 18
; ScratchSize: 0
; MemoryBound: 0
; FloatMode: 240
; IeeeMode: 1
; LDSByteSize: 0 bytes/workgroup (compile time only)
; SGPRBlocks: 5
; VGPRBlocks: 2
; NumSGPRsForWavesPerEU: 46
; NumVGPRsForWavesPerEU: 18
; AccumOffset: 20
; Occupancy: 8
; WaveLimiterHint : 0
; COMPUTE_PGM_RSRC2:SCRATCH_EN: 0
; COMPUTE_PGM_RSRC2:USER_SGPR: 2
; COMPUTE_PGM_RSRC2:TRAP_HANDLER: 0
; COMPUTE_PGM_RSRC2:TGID_X_EN: 1
; COMPUTE_PGM_RSRC2:TGID_Y_EN: 1
; COMPUTE_PGM_RSRC2:TGID_Z_EN: 1
; COMPUTE_PGM_RSRC2:TIDIG_COMP_CNT: 0
; COMPUTE_PGM_RSRC3_GFX90A:ACCUM_OFFSET: 4
; COMPUTE_PGM_RSRC3_GFX90A:TG_SPLIT: 0
	.section	.text._ZL13convert_unaryI14__hip_bfloat166__halfEvPKvPT0_lll15HIP_vector_typeIjLj3EElll,"axG",@progbits,_ZL13convert_unaryI14__hip_bfloat166__halfEvPKvPT0_lll15HIP_vector_typeIjLj3EElll,comdat
	.globl	_ZL13convert_unaryI14__hip_bfloat166__halfEvPKvPT0_lll15HIP_vector_typeIjLj3EElll ; -- Begin function _ZL13convert_unaryI14__hip_bfloat166__halfEvPKvPT0_lll15HIP_vector_typeIjLj3EElll
	.p2align	8
	.type	_ZL13convert_unaryI14__hip_bfloat166__halfEvPKvPT0_lll15HIP_vector_typeIjLj3EElll,@function
_ZL13convert_unaryI14__hip_bfloat166__halfEvPKvPT0_lll15HIP_vector_typeIjLj3EElll: ; @_ZL13convert_unaryI14__hip_bfloat166__halfEvPKvPT0_lll15HIP_vector_typeIjLj3EElll
; %bb.0:
	s_mov_b32 s6, s3
	s_load_dword s3, s[0:1], 0x5c
	s_load_dwordx4 s[36:39], s[0:1], 0x10
	s_add_u32 s40, s0, 0x50
	s_addc_u32 s41, s1, 0
	v_mov_b32_e32 v1, 0
	s_waitcnt lgkmcnt(0)
	s_and_b32 s3, s3, 0xffff
	v_mov_b32_e32 v2, s2
	v_mad_u64_u32 v[0:1], s[2:3], s3, v2, v[0:1]
	v_cmp_gt_i64_e32 vcc, s[36:37], v[0:1]
	s_and_saveexec_b64 s[2:3], vcc
	s_cbranch_execz .LBB45_16
; %bb.1:
	s_load_dwordx2 s[42:43], s[0:1], 0x20
	s_mov_b32 s7, 0
	v_mov_b64_e32 v[2:3], s[38:39]
	v_cmp_ge_i64_e32 vcc, s[6:7], v[2:3]
	s_cbranch_vccnz .LBB45_16
; %bb.2:
	s_load_dwordx4 s[20:23], s[0:1], 0x0
	s_load_dwordx8 s[8:15], s[0:1], 0x28
	s_load_dwordx2 s[28:29], s[0:1], 0x48
	s_mov_b32 s0, s4
                                        ; implicit-def: $vgpr23 : SGPR spill to VGPR lane
	s_mul_hi_u32 s1, s38, s36
	v_writelane_b32 v23, s0, 0
	s_mov_b32 s0, s7
	v_writelane_b32 v23, s0, 1
	s_mov_b32 s0, s4
	v_writelane_b32 v23, s0, 2
	v_writelane_b32 v23, s0, 3
	s_mul_i32 s0, s38, s37
	s_add_i32 s0, s1, s0
	s_mul_i32 s1, s39, s36
	s_add_i32 s3, s0, s1
	s_mul_i32 s2, s38, s36
	s_lshl_b64 s[0:1], s[2:3], 1
	v_writelane_b32 v23, s0, 4
	s_mov_b32 s26, s4
	s_mov_b32 s27, s7
	v_writelane_b32 v23, s1, 5
	s_lshl_b64 s[0:1], s[36:37], 1
	v_writelane_b32 v23, s0, 6
	s_waitcnt lgkmcnt(0)
	v_mov_b64_e32 v[4:5], s[42:43]
	v_cmp_lt_i64_e64 s[86:87], s[26:27], v[4:5]
	v_writelane_b32 v23, s1, 7
	v_writelane_b32 v23, s26, 8
	s_mov_b32 s70, s38
	s_mov_b32 s55, s39
	v_writelane_b32 v23, s27, 9
	s_mov_b32 s72, s38
	s_mov_b32 s96, s39
	;; [unrolled: 1-line block ×14, first 2 shown]
	v_mov_b64_e32 v[6:7], s[38:39]
	v_writelane_b32 v23, s36, 10
	v_lshl_add_u64 v[2:3], v[0:1], 1, s[22:23]
	s_load_dword s23, s[40:41], 0x4
	v_writelane_b32 v23, s37, 11
	v_writelane_b32 v23, s38, 12
	;; [unrolled: 1-line block ×4, first 2 shown]
	v_mov_b64_e32 v[8:9], s[42:43]
	s_mov_b32 s44, s8
	v_writelane_b32 v23, s41, 15
	v_writelane_b32 v23, s42, 16
	s_mov_b32 s45, s8
	s_mov_b32 s46, s8
	v_writelane_b32 v23, s43, 17
	s_waitcnt lgkmcnt(0)
	v_writelane_b32 v23, s23, 18
	v_writelane_b32 v23, s86, 19
	s_mov_b32 s47, s8
	s_mov_b32 s48, s9
	;; [unrolled: 1-line block ×23, first 2 shown]
	s_sub_i32 s33, 0, s10
	v_lshlrev_b64 v[4:5], 1, v[0:1]
	v_mov_b32_e32 v12, 0x4f800000
	s_mov_b64 s[16:17], s[6:7]
	v_writelane_b32 v23, s87, 20
	v_writelane_b32 v23, s33, 21
	s_branch .LBB45_4
.LBB45_3:                               ;   in Loop: Header=BB45_4 Depth=1
	s_add_u32 s16, s16, s23
	s_addc_u32 s17, s17, 0
	v_cmp_ge_i64_e32 vcc, s[16:17], v[6:7]
	s_cbranch_vccnz .LBB45_16
.LBB45_4:                               ; =>This Loop Header: Depth=1
                                        ;     Child Loop BB45_10 Depth 2
                                        ;     Child Loop BB45_14 Depth 2
	s_andn2_b64 vcc, exec, s[86:87]
	s_cbranch_vccnz .LBB45_3
; %bb.5:                                ;   in Loop: Header=BB45_4 Depth=1
	s_load_dword s6, s[40:41], 0x8
	v_mov_b64_e32 v[10:11], s[42:43]
	s_waitcnt lgkmcnt(0)
	s_add_u32 s24, s26, s6
	s_addc_u32 s25, 0, 0
	v_mov_b64_e32 v[14:15], s[24:25]
	v_cmp_lt_i64_e64 s[2:3], s[24:25], v[10:11]
	v_cmp_gt_i64_e32 vcc, s[42:43], v[14:15]
	s_and_b64 s[30:31], vcc, exec
	v_cndmask_b32_e64 v10, 0, 1, s[2:3]
	s_cselect_b32 s1, s42, s24
	v_readfirstlane_b32 s4, v10
	s_cselect_b32 s0, s43, s25
	s_sub_u32 s1, s1, s4
	s_subb_u32 s0, s0, 0
	s_sub_u32 s24, s1, s24
	s_subb_u32 s31, s0, s25
	s_mov_b32 s30, s7
	s_cmp_lg_u64 s[30:31], 0
	s_cbranch_scc0 .LBB45_15
; %bb.6:                                ;   in Loop: Header=BB45_4 Depth=1
	v_cvt_f32_u32_e32 v10, s6
	s_sub_u32 s0, 0, s6
	s_subb_u32 s1, 0, 0
	v_fmac_f32_e32 v10, 0, v12
	v_rcp_f32_e32 v10, v10
	s_nop 0
	v_mul_f32_e32 v10, 0x5f7ffffc, v10
	v_mul_f32_e32 v11, 0x2f800000, v10
	v_trunc_f32_e32 v11, v11
	v_fmac_f32_e32 v10, 0xcf800000, v11
	v_cvt_u32_f32_e32 v11, v11
	v_cvt_u32_f32_e32 v10, v10
	v_readfirstlane_b32 s4, v11
	v_readfirstlane_b32 s5, v10
	s_mul_i32 s10, s0, s4
	s_mul_hi_u32 s18, s0, s5
	s_mul_i32 s11, s1, s5
	s_add_i32 s10, s18, s10
	s_mul_i32 s19, s0, s5
	s_add_i32 s10, s10, s11
	s_mul_hi_u32 s18, s5, s19
	s_mul_hi_u32 s11, s5, s10
	s_mul_i32 s5, s5, s10
	s_add_u32 s5, s18, s5
	s_addc_u32 s11, 0, s11
	s_mul_hi_u32 s22, s4, s19
	s_mul_i32 s19, s4, s19
	s_add_u32 s5, s5, s19
	s_mul_hi_u32 s18, s4, s10
	s_addc_u32 s5, s11, s22
	s_addc_u32 s11, s18, 0
	s_mul_i32 s10, s4, s10
	s_add_u32 s5, s5, s10
	s_addc_u32 s10, 0, s11
	v_add_co_u32_e32 v10, vcc, s5, v10
	s_cmp_lg_u64 vcc, 0
	s_addc_u32 s4, s4, s10
	v_readfirstlane_b32 s10, v10
	s_mul_i32 s5, s0, s4
	s_mul_hi_u32 s11, s0, s10
	s_add_i32 s5, s11, s5
	s_mul_i32 s1, s1, s10
	s_add_i32 s5, s5, s1
	s_mul_i32 s0, s0, s10
	s_mul_hi_u32 s11, s4, s0
	s_mul_i32 s18, s4, s0
	s_mul_i32 s22, s10, s5
	s_mul_hi_u32 s0, s10, s0
	s_mul_hi_u32 s19, s10, s5
	s_add_u32 s0, s0, s22
	s_addc_u32 s10, 0, s19
	s_add_u32 s0, s0, s18
	s_mul_hi_u32 s1, s4, s5
	s_addc_u32 s0, s10, s11
	s_addc_u32 s1, s1, 0
	s_mul_i32 s5, s4, s5
	s_add_u32 s0, s0, s5
	s_addc_u32 s1, 0, s1
	v_add_co_u32_e32 v10, vcc, s0, v10
	s_cmp_lg_u64 vcc, 0
	s_addc_u32 s0, s4, s1
	v_readfirstlane_b32 s5, v10
	s_mul_i32 s4, s24, s0
	s_mul_hi_u32 s10, s24, s5
	s_mul_hi_u32 s1, s24, s0
	s_add_u32 s4, s10, s4
	s_addc_u32 s1, 0, s1
	s_mul_hi_u32 s11, s31, s5
	s_mul_i32 s5, s31, s5
	s_add_u32 s4, s4, s5
	s_mul_hi_u32 s10, s31, s0
	s_addc_u32 s1, s1, s11
	s_addc_u32 s4, s10, 0
	s_mul_i32 s0, s31, s0
	s_add_u32 s0, s1, s0
	s_addc_u32 s1, 0, s4
	s_add_u32 s4, s0, 1
	s_addc_u32 s5, s1, 0
	s_add_u32 s10, s0, 2
	s_mul_i32 s18, s6, s1
	s_mul_hi_u32 s19, s6, s0
	s_addc_u32 s11, s1, 0
	s_add_i32 s19, s19, s18
	s_mul_i32 s18, s6, s0
	v_mov_b32_e32 v10, s18
	v_sub_co_u32_e32 v10, vcc, s24, v10
	s_cmp_lg_u64 vcc, 0
	s_subb_u32 s18, s31, s19
	v_subrev_co_u32_e32 v11, vcc, s6, v10
	s_cmp_lg_u64 vcc, 0
	s_subb_u32 s19, s18, 0
	v_readfirstlane_b32 s22, v11
	s_cmp_ge_u32 s22, s6
	s_cselect_b32 s22, -1, 0
	s_cmp_eq_u32 s19, 0
	s_cselect_b32 s19, s22, -1
	s_cmp_lg_u32 s19, 0
	s_cselect_b32 s4, s10, s4
	v_readfirstlane_b32 s10, v10
	s_cselect_b32 s5, s11, s5
	s_cmp_ge_u32 s10, s6
	s_cselect_b32 s10, -1, 0
	s_cmp_eq_u32 s18, 0
	s_cselect_b32 s10, s10, -1
	s_cmp_lg_u32 s10, 0
	s_cselect_b32 s35, s5, s1
	s_cselect_b32 s34, s4, s0
	s_cbranch_execnz .LBB45_8
.LBB45_7:                               ;   in Loop: Header=BB45_4 Depth=1
	v_cvt_f32_u32_e32 v10, s6
	s_sub_i32 s0, 0, s6
	s_mov_b32 s35, s7
	v_rcp_iflag_f32_e32 v10, v10
	s_nop 0
	v_mul_f32_e32 v10, 0x4f7ffffe, v10
	v_cvt_u32_f32_e32 v10, v10
	s_nop 0
	v_readfirstlane_b32 s1, v10
	s_mul_i32 s0, s0, s1
	s_mul_hi_u32 s0, s1, s0
	s_add_i32 s1, s1, s0
	s_mul_hi_u32 s0, s24, s1
	s_mul_i32 s4, s0, s6
	s_sub_i32 s4, s24, s4
	s_add_i32 s1, s0, 1
	s_sub_i32 s5, s4, s6
	s_cmp_ge_u32 s4, s6
	s_cselect_b32 s0, s1, s0
	s_cselect_b32 s4, s5, s4
	s_add_i32 s1, s0, 1
	s_cmp_ge_u32 s4, s6
	s_cselect_b32 s34, s1, s0
.LBB45_8:                               ;   in Loop: Header=BB45_4 Depth=1
	s_mul_i32 s0, s16, s13
	s_mul_hi_u32 s1, s16, s12
	s_add_i32 s0, s1, s0
	s_mul_i32 s1, s17, s12
	s_add_i32 s31, s0, s1
	s_and_b64 s[2:3], s[2:3], exec
	s_cselect_b32 s0, 2, 1
	s_add_u32 s0, s0, s34
	s_addc_u32 s1, 0, s35
	v_cmp_gt_u64_e64 s[24:25], s[0:1], 3
	s_mul_i32 s30, s16, s12
	s_mov_b64 s[34:35], -1
	s_and_b64 vcc, exec, s[24:25]
	s_mov_b64 s[36:37], s[26:27]
	s_cbranch_vccz .LBB45_12
; %bb.9:                                ;   in Loop: Header=BB45_4 Depth=1
	s_and_b32 s38, s0, -4
	v_writelane_b32 v23, s0, 22
	s_lshl_b64 s[24:25], s[6:7], 1
	s_mov_b32 s39, s1
	v_writelane_b32 v23, s1, 23
	s_mul_i32 s1, s6, 3
	v_readlane_b32 s2, v23, 2
	s_add_u32 s87, s2, s24
	s_addc_u32 s88, 0, s25
	v_readlane_b32 s2, v23, 3
	s_mul_hi_u32 s0, s6, 3
	s_add_u32 s89, s2, s1
	s_addc_u32 s90, 0, s0
	s_add_u32 s91, s26, s6
	s_addc_u32 s92, 0, 0
	v_readlane_b32 s93, v23, 0
	v_readlane_b32 s94, v23, 1
	v_writelane_b32 v23, s6, 24
	s_lshl_b64 s[36:37], s[6:7], 2
	s_mov_b32 s0, s36
	v_writelane_b32 v23, s7, 25
	v_writelane_b32 v23, s0, 26
	s_mov_b32 s0, s37
	v_writelane_b32 v23, s0, 27
	s_mov_b32 s0, s36
	;; [unrolled: 2-line block ×8, first 2 shown]
	s_mov_b32 s33, s17
	s_mov_b32 s24, s16
	;; [unrolled: 1-line block ×3, first 2 shown]
	v_writelane_b32 v23, s38, 34
	s_nop 1
	v_writelane_b32 v23, s39, 35
.LBB45_10:                              ;   Parent Loop BB45_4 Depth=1
                                        ; =>  This Inner Loop Header: Depth=2
	s_mul_hi_u32 s0, s93, s44
	s_mul_i32 s1, s89, s81
	s_mul_hi_u32 s2, s89, s76
	s_mul_i32 s4, s87, s97
	s_mul_hi_u32 s5, s87, s74
	s_mul_hi_u32 s27, s89, s47
	s_mul_i32 s10, s88, s74
	s_mul_i32 s11, s91, s96
	s_mul_hi_u32 s18, s91, s72
	s_mul_i32 s22, s93, s55
	s_mul_hi_u32 s23, s93, s70
	s_mul_hi_u32 s34, s87, s46
	s_add_i32 s1, s2, s1
	s_add_i32 s2, s5, s4
	s_add_i32 s0, s0, s93
	s_add_i32 s27, s27, s89
	s_mul_i32 s19, s92, s72
	s_mul_i32 s26, s94, s70
	s_add_i32 s4, s18, s11
	s_add_i32 s5, s23, s22
	;; [unrolled: 1-line block ×3, first 2 shown]
	s_lshr_b32 s0, s0, s48
	s_add_i32 s2, s2, s10
	s_lshr_b32 s10, s27, s51
	s_mul_hi_u32 s35, s91, s45
	s_add_i32 s4, s4, s19
	s_mov_b32 s56, s55
	s_mov_b32 s55, s44
	s_add_i32 s44, s5, s26
	s_lshr_b32 s5, s34, s50
	s_mul_i32 s11, s0, s52
	s_mul_i32 s18, s29, s0
	s_mul_hi_u32 s19, s28, s0
	s_mul_i32 vcc_lo, s28, s0
	s_mul_i32 s0, s83, s10
	s_mul_hi_u32 s23, s60, s10
	s_mul_i32 s3, s90, s76
	s_add_i32 s35, s35, s91
	s_add_i32 vcc_hi, s19, s18
	s_mul_i32 s18, s61, s5
	s_mul_hi_u32 s19, s58, s5
	s_add_i32 s23, s23, s0
	s_sub_i32 s0, s93, s11
	s_add_i32 s3, s1, s3
	s_lshr_b32 s1, s35, s49
	s_add_i32 s11, s19, s18
	s_mul_i32 s18, s65, s0
	s_mul_hi_u32 s19, s62, s0
	s_mul_i32 s34, s10, s57
	s_add_i32 s19, s19, s18
	s_mul_i32 s18, s62, s0
	s_mul_i32 s0, s59, s1
	s_mul_hi_u32 s26, s73, s1
	s_mul_i32 s22, s60, s10
	s_mul_i32 s10, s58, s5
	;; [unrolled: 1-line block ×3, first 2 shown]
	s_add_i32 s27, s26, s0
	s_mul_i32 s26, s73, s1
	s_mul_i32 s1, s1, s53
	s_mov_b32 s63, s48
	s_sub_i32 s48, s89, s34
	s_sub_i32 s0, s91, s1
	s_mov_b32 s79, s59
	s_mov_b32 s59, s46
	s_sub_i32 s46, s87, s5
	s_mul_i32 s1, s71, s48
	s_mul_hi_u32 s5, s75, s48
	s_add_i32 s1, s5, s1
	s_mul_i32 s5, s69, s46
	s_mul_hi_u32 s34, s68, s46
	s_add_i32 s35, s34, s5
	;; [unrolled: 3-line block ×3, first 2 shown]
	s_mul_i32 s34, s93, s70
	s_mov_b32 s86, s67
	s_mov_b32 s67, s50
	s_add_u32 s50, s34, s16
	s_addc_u32 s34, s44, s17
	s_mul_i32 s44, s91, s72
	v_readlane_b32 s6, v23, 32
	s_add_u32 s44, s44, s6
	v_readlane_b32 s6, v23, 33
	s_addc_u32 s4, s4, s6
	s_mov_b32 s77, s57
	s_mov_b32 s57, s45
	s_mul_i32 s45, s87, s74
	s_mov_b32 s6, s69
	s_mov_b32 s69, s51
	s_add_u32 s51, s45, s41
	s_addc_u32 s2, s2, s33
	s_mul_i32 s45, s89, s76
	s_mov_b32 s7, s71
	s_mov_b32 s71, s52
	s_add_u32 s52, s45, s24
	s_mul_i32 s45, s51, s98
	s_mov_b32 s43, s98
	s_mov_b32 s98, s81
	;; [unrolled: 1-line block ×4, first 2 shown]
	s_mul_hi_u32 s47, s51, s82
	s_addc_u32 s3, s3, s25
	s_add_i32 s45, s47, s45
	s_mul_i32 s47, s44, s85
	s_mov_b32 s42, s85
	s_mov_b32 s85, s65
	;; [unrolled: 1-line block ×3, first 2 shown]
	s_mul_hi_u32 s49, s44, s80
	s_add_i32 s47, s49, s47
	s_mul_i32 s49, s50, s95
	s_mov_b32 s64, s62
	s_mov_b32 s62, s60
	;; [unrolled: 1-line block ×5, first 2 shown]
	s_mul_hi_u32 s53, s50, s78
	s_add_i32 s49, s53, s49
	s_mul_i32 s53, s52, s99
	s_mov_b32 s40, s99
	s_mov_b32 s99, s95
	;; [unrolled: 1-line block ×4, first 2 shown]
	s_mul_hi_u32 s54, s52, s84
	s_add_i32 s53, s54, s53
	s_mul_i32 s34, s34, s78
	s_mul_i32 s4, s4, s80
	;; [unrolled: 1-line block ×4, first 2 shown]
	s_lshl_b64 vcc, vcc, 1
	s_add_i32 s3, s45, s2
	s_add_i32 s45, s47, s4
	;; [unrolled: 1-line block ×4, first 2 shown]
	s_add_u32 s2, s20, vcc_lo
	s_addc_u32 s4, s21, vcc_hi
	s_lshl_b64 s[26:27], s[26:27], 1
	s_add_u32 s26, s20, s26
	s_addc_u32 s27, s21, s27
	s_lshl_b64 s[10:11], s[10:11], 1
	s_add_u32 s53, s20, s10
	s_addc_u32 s54, s21, s11
	;; [unrolled: 3-line block ×4, first 2 shown]
	s_mul_i32 s4, s66, s0
	s_lshl_b64 s[4:5], s[4:5], 1
	s_add_u32 s11, s26, s4
	s_mul_i32 s34, s68, s46
	s_addc_u32 s18, s27, s5
	s_lshl_b64 s[4:5], s[34:35], 1
	s_add_u32 s19, s53, s4
	s_addc_u32 s26, s54, s5
	s_mov_b32 s54, s75
	s_mov_b32 s75, s95
	s_mul_i32 s0, s75, s48
	s_lshl_b64 s[0:1], s[0:1], 1
	s_add_u32 s22, s22, s0
	s_addc_u32 s23, s23, s1
	s_lshl_b64 s[0:1], s[30:31], 1
	s_add_u32 s4, s2, s0
	s_addc_u32 s5, s10, s1
	s_add_u32 s10, s11, s0
	s_addc_u32 s11, s18, s1
	;; [unrolled: 2-line block ×3, first 2 shown]
	s_add_u32 s0, s22, s0
	v_lshl_add_u64 v[10:11], s[4:5], 0, v[4:5]
	s_addc_u32 s1, s23, s1
	v_lshl_add_u64 v[14:15], s[10:11], 0, v[4:5]
	global_load_ushort v13, v[10:11], off
	global_load_ushort v20, v[14:15], off
	v_lshl_add_u64 v[10:11], s[18:19], 0, v[4:5]
	global_load_ushort v21, v[10:11], off
	v_lshl_add_u64 v[10:11], s[0:1], 0, v[4:5]
	global_load_ushort v22, v[10:11], off
	v_readlane_b32 s0, v23, 30
	s_add_u32 s89, s89, s0
	v_readlane_b32 s0, v23, 31
	s_addc_u32 s90, s90, s0
	v_readlane_b32 s0, v23, 28
	s_add_u32 s87, s87, s0
	v_readlane_b32 s0, v23, 29
	s_addc_u32 s88, s88, s0
	;; [unrolled: 4-line block ×3, first 2 shown]
	s_add_u32 s93, s93, s36
	s_addc_u32 s94, s94, s37
	s_add_u32 s38, s38, -4
	s_mul_i32 s46, s50, s78
	s_mul_i32 s44, s44, s80
	;; [unrolled: 1-line block ×3, first 2 shown]
	s_addc_u32 s39, s39, -1
	s_mov_b32 s53, s73
	s_mov_b32 s73, s58
	;; [unrolled: 1-line block ×9, first 2 shown]
	s_mul_i32 s2, s51, s82
	s_mov_b32 s51, s69
	s_mov_b32 s69, s6
	;; [unrolled: 1-line block ×4, first 2 shown]
	v_lshl_add_u64 v[10:11], s[46:47], 1, v[2:3]
	s_mov_b32 s47, s61
	s_mov_b32 s61, s81
	;; [unrolled: 1-line block ×6, first 2 shown]
	v_lshl_add_u64 v[14:15], s[44:45], 1, v[2:3]
	s_mov_b32 s45, s57
	s_mov_b32 s57, s77
	;; [unrolled: 1-line block ×4, first 2 shown]
	v_lshl_add_u64 v[18:19], s[48:49], 1, v[2:3]
	s_mov_b32 s49, s65
	s_mov_b32 s65, s85
	;; [unrolled: 1-line block ×4, first 2 shown]
	s_cmp_lg_u64 s[38:39], 0
	v_lshl_add_u64 v[16:17], s[2:3], 1, v[2:3]
	s_waitcnt vmcnt(3)
	v_lshlrev_b32_e32 v13, 16, v13
	v_cvt_f16_f32_e32 v13, v13
	s_waitcnt vmcnt(2)
	v_lshlrev_b32_e32 v20, 16, v20
	v_cvt_f16_f32_e32 v20, v20
	;; [unrolled: 3-line block ×4, first 2 shown]
	global_store_short v[10:11], v13, off
	global_store_short v[14:15], v20, off
	;; [unrolled: 1-line block ×4, first 2 shown]
	s_cbranch_scc1 .LBB45_10
; %bb.11:                               ;   in Loop: Header=BB45_4 Depth=1
	v_readlane_b32 s2, v23, 34
	v_readlane_b32 s6, v23, 24
	;; [unrolled: 1-line block ×3, first 2 shown]
	s_mul_i32 s0, s3, s6
	s_mul_hi_u32 s1, s2, s6
	s_add_i32 s1, s1, s0
	s_mul_i32 s0, s2, s6
	v_readlane_b32 s26, v23, 8
	s_add_u32 s36, s0, s26
	s_addc_u32 s37, s1, 0
	v_readlane_b32 s0, v23, 22
	v_readlane_b32 s1, v23, 23
	s_cmp_lg_u64 s[0:1], s[2:3]
	v_readlane_b32 s0, v23, 10
	v_readlane_b32 s2, v23, 12
	;; [unrolled: 1-line block ×8, first 2 shown]
	s_cselect_b64 s[34:35], -1, 0
	s_mov_b64 s[38:39], s[2:3]
	v_readlane_b32 s41, v23, 15
	v_readlane_b32 s43, v23, 17
	;; [unrolled: 1-line block ×6, first 2 shown]
.LBB45_12:                              ;   in Loop: Header=BB45_4 Depth=1
	s_and_b64 vcc, exec, s[34:35]
	s_cbranch_vccz .LBB45_3
; %bb.13:                               ;   in Loop: Header=BB45_4 Depth=1
	s_mul_i32 s0, s38, s37
	s_mul_hi_u32 s1, s38, s36
	s_add_i32 s0, s1, s0
	s_mul_i32 s1, s39, s36
	s_add_i32 s0, s0, s1
	s_mul_i32 s1, s38, s36
	s_add_u32 s1, s16, s1
	v_readlane_b32 s4, v23, 6
	s_addc_u32 s0, s17, s0
	v_readlane_b32 s5, v23, 7
	s_mul_i32 s2, s5, s1
	s_mul_i32 s0, s4, s0
	v_mov_b32_e32 v10, s1
	s_add_i32 s0, s0, s2
	v_mad_u64_u32 v[10:11], s[2:3], s4, v10, v[2:3]
	v_readlane_b32 s2, v23, 4
	v_readlane_b32 s3, v23, 5
	v_add_u32_e32 v11, s0, v11
	s_mul_i32 s0, s3, s6
	s_mul_hi_u32 s1, s2, s6
	s_add_i32 s3, s1, s0
	s_mul_i32 s2, s2, s6
.LBB45_14:                              ;   Parent Loop BB45_4 Depth=1
                                        ; =>  This Inner Loop Header: Depth=2
	s_mul_hi_u32 s0, s8, s36
	s_add_i32 s0, s36, s0
	s_lshr_b32 s0, s0, s9
	s_mul_i32 s1, s33, s0
	s_mul_i32 s4, s0, s29
	s_mul_hi_u32 s5, s0, s28
	s_add_i32 s10, s36, s1
	s_mul_i32 s0, s0, s28
	s_add_i32 s1, s5, s4
	s_mul_i32 s5, s10, s15
	s_mul_hi_u32 s11, s10, s14
	s_lshl_b64 s[0:1], s[0:1], 1
	s_add_i32 s5, s11, s5
	s_mul_i32 s4, s10, s14
	s_add_u32 s10, s20, s0
	s_addc_u32 s11, s21, s1
	s_lshl_b64 s[0:1], s[4:5], 1
	s_add_u32 s4, s10, s0
	s_addc_u32 s5, s11, s1
	s_lshl_b64 s[0:1], s[30:31], 1
	s_add_u32 s0, s4, s0
	s_addc_u32 s1, s5, s1
	v_lshl_add_u64 v[14:15], v[0:1], 1, s[0:1]
	global_load_ushort v13, v[14:15], off
	s_add_u32 s36, s36, s6
	s_addc_u32 s37, s37, 0
	v_cmp_ge_i64_e32 vcc, s[36:37], v[8:9]
	s_and_b64 vcc, exec, vcc
	s_waitcnt vmcnt(0)
	v_lshlrev_b32_e32 v13, 16, v13
	v_cvt_f16_f32_e32 v13, v13
	global_store_short v[10:11], v13, off
	v_lshl_add_u64 v[10:11], v[10:11], 0, s[2:3]
	s_cbranch_vccz .LBB45_14
	s_branch .LBB45_3
.LBB45_15:                              ;   in Loop: Header=BB45_4 Depth=1
                                        ; implicit-def: $sgpr34_sgpr35
	s_branch .LBB45_7
.LBB45_16:
	s_endpgm
	.section	.rodata,"a",@progbits
	.p2align	6, 0x0
	.amdhsa_kernel _ZL13convert_unaryI14__hip_bfloat166__halfEvPKvPT0_lll15HIP_vector_typeIjLj3EElll
		.amdhsa_group_segment_fixed_size 0
		.amdhsa_private_segment_fixed_size 0
		.amdhsa_kernarg_size 336
		.amdhsa_user_sgpr_count 2
		.amdhsa_user_sgpr_dispatch_ptr 0
		.amdhsa_user_sgpr_queue_ptr 0
		.amdhsa_user_sgpr_kernarg_segment_ptr 1
		.amdhsa_user_sgpr_dispatch_id 0
		.amdhsa_user_sgpr_kernarg_preload_length 0
		.amdhsa_user_sgpr_kernarg_preload_offset 0
		.amdhsa_user_sgpr_private_segment_size 0
		.amdhsa_uses_dynamic_stack 0
		.amdhsa_enable_private_segment 0
		.amdhsa_system_sgpr_workgroup_id_x 1
		.amdhsa_system_sgpr_workgroup_id_y 1
		.amdhsa_system_sgpr_workgroup_id_z 1
		.amdhsa_system_sgpr_workgroup_info 0
		.amdhsa_system_vgpr_workitem_id 0
		.amdhsa_next_free_vgpr 24
		.amdhsa_next_free_sgpr 100
		.amdhsa_accum_offset 24
		.amdhsa_reserve_vcc 1
		.amdhsa_float_round_mode_32 0
		.amdhsa_float_round_mode_16_64 0
		.amdhsa_float_denorm_mode_32 3
		.amdhsa_float_denorm_mode_16_64 3
		.amdhsa_dx10_clamp 1
		.amdhsa_ieee_mode 1
		.amdhsa_fp16_overflow 0
		.amdhsa_tg_split 0
		.amdhsa_exception_fp_ieee_invalid_op 0
		.amdhsa_exception_fp_denorm_src 0
		.amdhsa_exception_fp_ieee_div_zero 0
		.amdhsa_exception_fp_ieee_overflow 0
		.amdhsa_exception_fp_ieee_underflow 0
		.amdhsa_exception_fp_ieee_inexact 0
		.amdhsa_exception_int_div_zero 0
	.end_amdhsa_kernel
	.section	.text._ZL13convert_unaryI14__hip_bfloat166__halfEvPKvPT0_lll15HIP_vector_typeIjLj3EElll,"axG",@progbits,_ZL13convert_unaryI14__hip_bfloat166__halfEvPKvPT0_lll15HIP_vector_typeIjLj3EElll,comdat
.Lfunc_end45:
	.size	_ZL13convert_unaryI14__hip_bfloat166__halfEvPKvPT0_lll15HIP_vector_typeIjLj3EElll, .Lfunc_end45-_ZL13convert_unaryI14__hip_bfloat166__halfEvPKvPT0_lll15HIP_vector_typeIjLj3EElll
                                        ; -- End function
	.section	.AMDGPU.csdata,"",@progbits
; Kernel info:
; codeLenInByte = 3112
; NumSgprs: 106
; NumVgprs: 24
; NumAgprs: 0
; TotalNumVgprs: 24
; ScratchSize: 0
; MemoryBound: 0
; FloatMode: 240
; IeeeMode: 1
; LDSByteSize: 0 bytes/workgroup (compile time only)
; SGPRBlocks: 13
; VGPRBlocks: 2
; NumSGPRsForWavesPerEU: 106
; NumVGPRsForWavesPerEU: 24
; AccumOffset: 24
; Occupancy: 7
; WaveLimiterHint : 0
; COMPUTE_PGM_RSRC2:SCRATCH_EN: 0
; COMPUTE_PGM_RSRC2:USER_SGPR: 2
; COMPUTE_PGM_RSRC2:TRAP_HANDLER: 0
; COMPUTE_PGM_RSRC2:TGID_X_EN: 1
; COMPUTE_PGM_RSRC2:TGID_Y_EN: 1
; COMPUTE_PGM_RSRC2:TGID_Z_EN: 1
; COMPUTE_PGM_RSRC2:TIDIG_COMP_CNT: 0
; COMPUTE_PGM_RSRC3_GFX90A:ACCUM_OFFSET: 5
; COMPUTE_PGM_RSRC3_GFX90A:TG_SPLIT: 0
	.section	.text._ZL13convert_unaryIf14__hip_bfloat16EvPKvPT0_lll15HIP_vector_typeIjLj3EElll,"axG",@progbits,_ZL13convert_unaryIf14__hip_bfloat16EvPKvPT0_lll15HIP_vector_typeIjLj3EElll,comdat
	.globl	_ZL13convert_unaryIf14__hip_bfloat16EvPKvPT0_lll15HIP_vector_typeIjLj3EElll ; -- Begin function _ZL13convert_unaryIf14__hip_bfloat16EvPKvPT0_lll15HIP_vector_typeIjLj3EElll
	.p2align	8
	.type	_ZL13convert_unaryIf14__hip_bfloat16EvPKvPT0_lll15HIP_vector_typeIjLj3EElll,@function
_ZL13convert_unaryIf14__hip_bfloat16EvPKvPT0_lll15HIP_vector_typeIjLj3EElll: ; @_ZL13convert_unaryIf14__hip_bfloat16EvPKvPT0_lll15HIP_vector_typeIjLj3EElll
; %bb.0:
	s_mov_b32 s6, s3
	s_load_dword s3, s[0:1], 0x5c
	s_load_dwordx4 s[16:19], s[0:1], 0x10
	s_add_u32 s24, s0, 0x50
	s_addc_u32 s25, s1, 0
	v_mov_b32_e32 v1, 0
	s_waitcnt lgkmcnt(0)
	s_and_b32 s3, s3, 0xffff
	v_mov_b32_e32 v2, s2
	v_mad_u64_u32 v[0:1], s[2:3], s3, v2, v[0:1]
	v_cmp_gt_i64_e32 vcc, s[16:17], v[0:1]
	s_and_saveexec_b64 s[2:3], vcc
	s_cbranch_execz .LBB46_20
; %bb.1:
	s_load_dwordx2 s[26:27], s[0:1], 0x20
	s_mov_b32 s7, 0
	v_mov_b64_e32 v[2:3], s[18:19]
	v_cmp_ge_i64_e32 vcc, s[6:7], v[2:3]
	s_cbranch_vccnz .LBB46_20
; %bb.2:
	s_load_dwordx4 s[20:23], s[0:1], 0x0
	s_load_dwordx8 s[8:15], s[0:1], 0x28
	s_load_dwordx2 s[28:29], s[0:1], 0x48
	s_waitcnt lgkmcnt(0)
	s_load_dword s11, s[24:25], 0x4
	s_mul_i32 s0, s18, s17
	s_mul_hi_u32 s1, s18, s16
	s_add_i32 s0, s1, s0
	s_mul_i32 s1, s19, s16
	s_mov_b32 s5, s7
	v_mov_b64_e32 v[4:5], s[26:27]
	s_add_i32 s1, s0, s1
	s_mul_i32 s0, s18, s16
	v_lshl_add_u64 v[2:3], v[0:1], 1, s[22:23]
	s_mov_b32 s33, s4
	s_mov_b32 s42, s7
	;; [unrolled: 1-line block ×21, first 2 shown]
	s_lshl_b64 s[22:23], s[16:17], 1
	s_lshl_b64 s[16:17], s[0:1], 1
	s_sub_i32 s62, 0, s10
	v_cmp_lt_i64_e64 s[0:1], s[4:5], v[4:5]
	v_lshlrev_b64 v[4:5], 2, v[0:1]
	s_mov_b32 s63, 0x7f800000
	s_movk_i32 s64, 0x7fff
	v_mov_b64_e32 v[6:7], s[26:27]
	v_mov_b64_e32 v[8:9], s[18:19]
	v_mov_b32_e32 v12, 0x4f800000
	v_mov_b32_e32 v13, 0
	s_mov_b64 s[30:31], s[6:7]
	s_branch .LBB46_4
.LBB46_3:                               ;   in Loop: Header=BB46_4 Depth=1
	s_waitcnt lgkmcnt(0)
	s_add_u32 s30, s30, s11
	s_addc_u32 s31, s31, 0
	v_cmp_ge_i64_e32 vcc, s[30:31], v[8:9]
	s_cbranch_vccnz .LBB46_20
.LBB46_4:                               ; =>This Loop Header: Depth=1
                                        ;     Child Loop BB46_10 Depth 2
                                        ;     Child Loop BB46_15 Depth 2
	s_andn2_b64 vcc, exec, s[0:1]
	s_cbranch_vccnz .LBB46_3
; %bb.5:                                ;   in Loop: Header=BB46_4 Depth=1
	s_load_dword s6, s[24:25], 0x8
	v_mov_b64_e32 v[10:11], s[26:27]
	s_waitcnt lgkmcnt(0)
	s_add_u32 s34, s4, s6
	s_addc_u32 s35, 0, 0
	v_mov_b64_e32 v[14:15], s[34:35]
	v_cmp_lt_i64_e64 s[2:3], s[34:35], v[10:11]
	v_cmp_gt_i64_e32 vcc, s[26:27], v[14:15]
	s_and_b64 s[36:37], vcc, exec
	v_cndmask_b32_e64 v10, 0, 1, s[2:3]
	s_cselect_b32 s37, s26, s34
	v_readfirstlane_b32 s38, v10
	s_cselect_b32 s36, s27, s35
	s_sub_u32 s37, s37, s38
	s_subb_u32 s36, s36, 0
	s_sub_u32 s38, s37, s34
	s_subb_u32 s35, s36, s35
	s_mov_b32 s34, s7
	s_cmp_lg_u64 s[34:35], 0
	s_cbranch_scc0 .LBB46_19
; %bb.6:                                ;   in Loop: Header=BB46_4 Depth=1
	v_cvt_f32_u32_e32 v10, s6
	s_sub_u32 s34, 0, s6
	s_subb_u32 s36, 0, 0
	v_fmac_f32_e32 v10, 0, v12
	v_rcp_f32_e32 v10, v10
	s_nop 0
	v_mul_f32_e32 v10, 0x5f7ffffc, v10
	v_mul_f32_e32 v11, 0x2f800000, v10
	v_trunc_f32_e32 v11, v11
	v_fmac_f32_e32 v10, 0xcf800000, v11
	v_cvt_u32_f32_e32 v11, v11
	v_cvt_u32_f32_e32 v10, v10
	v_readfirstlane_b32 s37, v11
	v_readfirstlane_b32 s39, v10
	s_mul_i32 s40, s34, s37
	s_mul_hi_u32 s65, s34, s39
	s_mul_i32 s41, s36, s39
	s_add_i32 s40, s65, s40
	s_mul_i32 s66, s34, s39
	s_add_i32 s40, s40, s41
	s_mul_hi_u32 s65, s39, s66
	s_mul_hi_u32 s41, s39, s40
	s_mul_i32 s39, s39, s40
	s_add_u32 s39, s65, s39
	s_addc_u32 s41, 0, s41
	s_mul_hi_u32 s67, s37, s66
	s_mul_i32 s66, s37, s66
	s_add_u32 s39, s39, s66
	s_mul_hi_u32 s65, s37, s40
	s_addc_u32 s39, s41, s67
	s_addc_u32 s41, s65, 0
	s_mul_i32 s40, s37, s40
	s_add_u32 s39, s39, s40
	s_addc_u32 s40, 0, s41
	v_add_co_u32_e32 v10, vcc, s39, v10
	s_cmp_lg_u64 vcc, 0
	s_addc_u32 s37, s37, s40
	v_readfirstlane_b32 s40, v10
	s_mul_i32 s39, s34, s37
	s_mul_hi_u32 s41, s34, s40
	s_add_i32 s39, s41, s39
	s_mul_i32 s36, s36, s40
	s_add_i32 s39, s39, s36
	s_mul_i32 s34, s34, s40
	s_mul_hi_u32 s41, s37, s34
	s_mul_i32 s65, s37, s34
	s_mul_i32 s67, s40, s39
	s_mul_hi_u32 s34, s40, s34
	s_mul_hi_u32 s66, s40, s39
	s_add_u32 s34, s34, s67
	s_addc_u32 s40, 0, s66
	s_add_u32 s34, s34, s65
	s_mul_hi_u32 s36, s37, s39
	s_addc_u32 s34, s40, s41
	s_addc_u32 s36, s36, 0
	s_mul_i32 s39, s37, s39
	s_add_u32 s34, s34, s39
	s_addc_u32 s36, 0, s36
	v_add_co_u32_e32 v10, vcc, s34, v10
	s_cmp_lg_u64 vcc, 0
	s_addc_u32 s34, s37, s36
	v_readfirstlane_b32 s39, v10
	s_mul_i32 s37, s38, s34
	s_mul_hi_u32 s40, s38, s39
	s_mul_hi_u32 s36, s38, s34
	s_add_u32 s37, s40, s37
	s_addc_u32 s36, 0, s36
	s_mul_hi_u32 s41, s35, s39
	s_mul_i32 s39, s35, s39
	s_add_u32 s37, s37, s39
	s_mul_hi_u32 s40, s35, s34
	s_addc_u32 s36, s36, s41
	s_addc_u32 s37, s40, 0
	s_mul_i32 s34, s35, s34
	s_add_u32 s34, s36, s34
	s_addc_u32 s36, 0, s37
	s_add_u32 s37, s34, 1
	s_addc_u32 s39, s36, 0
	s_add_u32 s40, s34, 2
	s_mul_i32 s65, s6, s36
	s_mul_hi_u32 s66, s6, s34
	s_addc_u32 s41, s36, 0
	s_add_i32 s66, s66, s65
	s_mul_i32 s65, s6, s34
	v_mov_b32_e32 v10, s65
	v_sub_co_u32_e32 v10, vcc, s38, v10
	s_cmp_lg_u64 vcc, 0
	s_subb_u32 s35, s35, s66
	v_subrev_co_u32_e32 v11, vcc, s6, v10
	s_cmp_lg_u64 vcc, 0
	s_subb_u32 s65, s35, 0
	v_readfirstlane_b32 s66, v11
	s_cmp_ge_u32 s66, s6
	s_cselect_b32 s66, -1, 0
	s_cmp_eq_u32 s65, 0
	s_cselect_b32 s65, s66, -1
	s_cmp_lg_u32 s65, 0
	s_cselect_b32 s40, s40, s37
	s_cselect_b32 s37, s41, s39
	v_readfirstlane_b32 s39, v10
	s_cmp_ge_u32 s39, s6
	s_cselect_b32 s39, -1, 0
	s_cmp_eq_u32 s35, 0
	s_cselect_b32 s35, s39, -1
	s_cmp_lg_u32 s35, 0
	s_cselect_b32 s37, s37, s36
	s_cselect_b32 s36, s40, s34
	s_cbranch_execnz .LBB46_8
.LBB46_7:                               ;   in Loop: Header=BB46_4 Depth=1
	v_cvt_f32_u32_e32 v10, s6
	s_sub_i32 s34, 0, s6
	v_rcp_iflag_f32_e32 v10, v10
	s_nop 0
	v_mul_f32_e32 v10, 0x4f7ffffe, v10
	v_cvt_u32_f32_e32 v10, v10
	s_nop 0
	v_readfirstlane_b32 s35, v10
	s_mul_i32 s34, s34, s35
	s_mul_hi_u32 s34, s35, s34
	s_add_i32 s35, s35, s34
	s_mul_hi_u32 s34, s38, s35
	s_mul_i32 s36, s34, s6
	s_sub_i32 s36, s38, s36
	s_add_i32 s35, s34, 1
	s_sub_i32 s37, s36, s6
	s_cmp_ge_u32 s36, s6
	s_cselect_b32 s34, s35, s34
	s_cselect_b32 s36, s37, s36
	s_add_i32 s35, s34, 1
	s_cmp_ge_u32 s36, s6
	s_cselect_b32 s36, s35, s34
	s_mov_b32 s37, s7
.LBB46_8:                               ;   in Loop: Header=BB46_4 Depth=1
	s_mul_i32 s34, s30, s13
	s_mul_hi_u32 s35, s30, s12
	s_add_i32 s34, s35, s34
	s_mul_i32 s35, s31, s12
	s_add_i32 s35, s34, s35
	s_and_b64 s[2:3], s[2:3], exec
	s_cselect_b32 s2, 2, 1
	s_add_u32 s2, s2, s36
	s_addc_u32 s3, 0, s37
	v_cmp_gt_u64_e64 s[38:39], s[2:3], 1
	s_mul_i32 s34, s30, s12
	s_mov_b64 s[36:37], -1
	s_and_b64 vcc, exec, s[38:39]
	s_mov_b64 s[38:39], s[4:5]
	s_cbranch_vccz .LBB46_12
; %bb.9:                                ;   in Loop: Header=BB46_4 Depth=1
	s_and_b32 s36, s2, -2
	s_add_u32 s65, s4, s6
	s_mov_b32 s37, s3
	s_addc_u32 s66, 0, 0
	s_lshl_b64 s[38:39], s[6:7], 1
	s_mov_b32 s67, s33
	s_mov_b32 s68, s42
	;; [unrolled: 1-line block ×6, first 2 shown]
	s_mov_b64 s[40:41], s[36:37]
.LBB46_10:                              ;   Parent Loop BB46_4 Depth=1
                                        ; =>  This Inner Loop Header: Depth=2
	s_mul_hi_u32 s73, s67, s43
	s_mul_hi_u32 s74, s65, s44
	s_mul_i32 s75, s65, s57
	s_mul_hi_u32 s76, s65, s56
	s_add_i32 s74, s74, s65
	s_add_i32 s73, s73, s67
	s_mul_i32 s77, s66, s56
	s_mul_i32 s78, s67, s55
	s_mul_hi_u32 s79, s67, s54
	s_add_i32 s75, s76, s75
	s_lshr_b32 s73, s73, s45
	s_lshr_b32 s74, s74, s46
	s_mul_i32 s80, s68, s54
	s_add_i32 s76, s79, s78
	s_add_i32 s84, s75, s77
	s_mul_i32 s75, s74, s47
	s_mul_i32 s77, s73, s10
	s_add_i32 s85, s76, s80
	s_mul_i32 s78, s49, s74
	s_mul_hi_u32 s79, s48, s74
	s_mul_i32 s80, s29, s73
	s_mul_hi_u32 s81, s28, s73
	s_mul_i32 s76, s28, s73
	s_sub_i32 s73, s67, s77
	s_sub_i32 s86, s65, s75
	s_add_i32 s75, s79, s78
	s_add_i32 s77, s81, s80
	s_mul_i32 s79, s53, s86
	s_mul_hi_u32 s81, s52, s86
	s_mul_i32 s78, s52, s86
	s_mul_i32 s86, s51, s73
	s_mul_hi_u32 s87, s50, s73
	s_mul_i32 s83, s67, s54
	s_add_i32 s79, s81, s79
	s_add_i32 s81, s87, s86
	s_mul_i32 s80, s50, s73
	s_add_u32 s73, s83, s30
	s_mul_i32 s82, s65, s56
	s_addc_u32 s83, s85, s31
	s_add_u32 s87, s82, s71
	s_mul_i32 s85, s73, s59
	s_mul_hi_u32 s86, s73, s58
	s_addc_u32 s82, s84, s72
	s_mul_i32 s84, s87, s61
	s_mul_hi_u32 s88, s87, s60
	s_mul_i32 s83, s83, s58
	s_add_i32 s85, s86, s85
	s_add_i32 s84, s88, s84
	s_mul_i32 s82, s82, s60
	s_lshl_b64 s[76:77], s[76:77], 2
	s_add_i32 s83, s85, s83
	s_add_i32 s85, s84, s82
	s_mul_i32 s74, s48, s74
	s_add_u32 s76, s20, s76
	s_addc_u32 s77, s21, s77
	s_lshl_b64 s[74:75], s[74:75], 2
	s_add_u32 s82, s20, s74
	s_addc_u32 s84, s21, s75
	s_lshl_b64 s[74:75], s[80:81], 2
	;; [unrolled: 3-line block ×4, first 2 shown]
	s_add_u32 s76, s76, s74
	s_addc_u32 s77, s77, s75
	s_add_u32 s74, s78, s74
	v_lshl_add_u64 v[10:11], s[76:77], 0, v[4:5]
	global_load_dword v16, v[10:11], off
	s_addc_u32 s75, s79, s75
	v_lshl_add_u64 v[10:11], s[74:75], 0, v[4:5]
	global_load_dword v17, v[10:11], off
	s_add_u32 s65, s65, s69
	s_addc_u32 s66, s66, s70
	s_add_u32 s67, s67, s38
	s_addc_u32 s68, s68, s39
	s_mul_i32 s82, s73, s58
	s_add_u32 s40, s40, -2
	s_mul_i32 s84, s87, s60
	v_lshl_add_u64 v[10:11], s[82:83], 1, v[2:3]
	s_addc_u32 s41, s41, -1
	v_lshl_add_u64 v[14:15], s[84:85], 1, v[2:3]
	s_cmp_lg_u64 s[40:41], 0
	s_waitcnt vmcnt(1)
	v_and_b32_e32 v18, 0x7f800000, v16
	v_bfe_u32 v19, v16, 16, 1
	v_or_b32_e32 v20, 0x10000, v16
	v_cmp_eq_u32_sdwa vcc, v16, v13 src0_sel:WORD_0 src1_sel:DWORD
	v_add3_u32 v19, v16, v19, s64
	s_waitcnt vmcnt(0)
	v_or_b32_e32 v21, 0x10000, v17
	v_cndmask_b32_e32 v16, v20, v16, vcc
	v_cmp_eq_u32_e32 vcc, s63, v18
	v_and_b32_e32 v18, 0x7f800000, v17
	v_bfe_u32 v20, v17, 16, 1
	v_cndmask_b32_e32 v16, v19, v16, vcc
	v_cmp_eq_u32_sdwa vcc, v17, v13 src0_sel:WORD_0 src1_sel:DWORD
	v_add3_u32 v19, v17, v20, s64
	global_store_short_d16_hi v[10:11], v16, off
	v_cndmask_b32_e32 v17, v21, v17, vcc
	v_cmp_eq_u32_e32 vcc, s63, v18
	s_nop 1
	v_cndmask_b32_e32 v10, v19, v17, vcc
	global_store_short_d16_hi v[14:15], v10, off
	s_cbranch_scc1 .LBB46_10
; %bb.11:                               ;   in Loop: Header=BB46_4 Depth=1
	s_mul_i32 s38, s37, s6
	s_mul_hi_u32 s39, s36, s6
	s_add_i32 s39, s39, s38
	s_mul_i32 s38, s36, s6
	s_add_u32 s38, s38, s4
	s_addc_u32 s39, s39, 0
	s_cmp_lg_u64 s[2:3], s[36:37]
	s_cselect_b64 s[36:37], -1, 0
.LBB46_12:                              ;   in Loop: Header=BB46_4 Depth=1
	s_and_b64 vcc, exec, s[36:37]
	s_cbranch_vccz .LBB46_3
; %bb.13:                               ;   in Loop: Header=BB46_4 Depth=1
	s_mul_i32 s2, s18, s39
	s_mul_hi_u32 s3, s18, s38
	s_add_i32 s2, s3, s2
	s_mul_i32 s3, s19, s38
	s_add_i32 s2, s2, s3
	s_mul_i32 s3, s18, s38
	s_add_u32 s3, s30, s3
	s_addc_u32 s2, s31, s2
	s_mul_i32 s36, s23, s3
	s_mul_i32 s2, s22, s2
	v_mov_b32_e32 v10, s3
	s_add_i32 s36, s2, s36
	v_mad_u64_u32 v[10:11], s[2:3], s22, v10, v[2:3]
	s_mul_i32 s2, s17, s6
	s_mul_hi_u32 s3, s16, s6
	v_add_u32_e32 v11, s36, v11
	s_add_i32 s3, s3, s2
	s_mul_i32 s2, s16, s6
	s_branch .LBB46_15
.LBB46_14:                              ;   in Loop: Header=BB46_15 Depth=2
	s_or_b64 exec, exec, s[36:37]
	s_add_u32 s38, s38, s6
	s_addc_u32 s39, s39, 0
	v_cmp_ge_i64_e32 vcc, s[38:39], v[6:7]
	global_store_short_d16_hi v[10:11], v15, off
	v_lshl_add_u64 v[10:11], v[10:11], 0, s[2:3]
	s_cbranch_vccnz .LBB46_3
.LBB46_15:                              ;   Parent Loop BB46_4 Depth=1
                                        ; =>  This Inner Loop Header: Depth=2
	s_mul_hi_u32 s36, s8, s38
	s_add_i32 s36, s38, s36
	s_lshr_b32 s36, s36, s9
	s_mul_i32 s37, s62, s36
	s_add_i32 s40, s38, s37
	s_mul_i32 s37, s36, s29
	s_mul_hi_u32 s41, s36, s28
	s_add_i32 s37, s41, s37
	s_mul_i32 s36, s36, s28
	s_mul_i32 s41, s40, s15
	s_mul_hi_u32 s65, s40, s14
	s_add_i32 s41, s65, s41
	s_lshl_b64 s[36:37], s[36:37], 2
	s_mul_i32 s40, s40, s14
	s_add_u32 s65, s20, s36
	s_addc_u32 s66, s21, s37
	s_lshl_b64 s[36:37], s[40:41], 2
	s_add_u32 s40, s65, s36
	s_addc_u32 s41, s66, s37
	s_lshl_b64 s[36:37], s[34:35], 2
	s_add_u32 s36, s40, s36
	s_addc_u32 s37, s41, s37
	v_lshl_add_u64 v[14:15], v[0:1], 2, s[36:37]
	global_load_dword v14, v[14:15], off
	s_waitcnt vmcnt(0)
	v_and_b32_e32 v15, 0x7f800000, v14
	v_cmp_ne_u32_e32 vcc, s63, v15
                                        ; implicit-def: $vgpr15
	s_and_saveexec_b64 s[36:37], vcc
	s_xor_b64 s[36:37], exec, s[36:37]
; %bb.16:                               ;   in Loop: Header=BB46_15 Depth=2
	v_bfe_u32 v15, v14, 16, 1
	v_add3_u32 v15, v14, v15, s64
                                        ; implicit-def: $vgpr14
; %bb.17:                               ;   in Loop: Header=BB46_15 Depth=2
	s_andn2_saveexec_b64 s[36:37], s[36:37]
	s_cbranch_execz .LBB46_14
; %bb.18:                               ;   in Loop: Header=BB46_15 Depth=2
	v_or_b32_e32 v15, 0x10000, v14
	v_cmp_eq_u32_sdwa vcc, v14, v13 src0_sel:WORD_0 src1_sel:DWORD
	s_nop 1
	v_cndmask_b32_e32 v15, v15, v14, vcc
	s_branch .LBB46_14
.LBB46_19:                              ;   in Loop: Header=BB46_4 Depth=1
                                        ; implicit-def: $sgpr36_sgpr37
	s_branch .LBB46_7
.LBB46_20:
	s_endpgm
	.section	.rodata,"a",@progbits
	.p2align	6, 0x0
	.amdhsa_kernel _ZL13convert_unaryIf14__hip_bfloat16EvPKvPT0_lll15HIP_vector_typeIjLj3EElll
		.amdhsa_group_segment_fixed_size 0
		.amdhsa_private_segment_fixed_size 0
		.amdhsa_kernarg_size 336
		.amdhsa_user_sgpr_count 2
		.amdhsa_user_sgpr_dispatch_ptr 0
		.amdhsa_user_sgpr_queue_ptr 0
		.amdhsa_user_sgpr_kernarg_segment_ptr 1
		.amdhsa_user_sgpr_dispatch_id 0
		.amdhsa_user_sgpr_kernarg_preload_length 0
		.amdhsa_user_sgpr_kernarg_preload_offset 0
		.amdhsa_user_sgpr_private_segment_size 0
		.amdhsa_uses_dynamic_stack 0
		.amdhsa_enable_private_segment 0
		.amdhsa_system_sgpr_workgroup_id_x 1
		.amdhsa_system_sgpr_workgroup_id_y 1
		.amdhsa_system_sgpr_workgroup_id_z 1
		.amdhsa_system_sgpr_workgroup_info 0
		.amdhsa_system_vgpr_workitem_id 0
		.amdhsa_next_free_vgpr 22
		.amdhsa_next_free_sgpr 89
		.amdhsa_accum_offset 24
		.amdhsa_reserve_vcc 1
		.amdhsa_float_round_mode_32 0
		.amdhsa_float_round_mode_16_64 0
		.amdhsa_float_denorm_mode_32 3
		.amdhsa_float_denorm_mode_16_64 3
		.amdhsa_dx10_clamp 1
		.amdhsa_ieee_mode 1
		.amdhsa_fp16_overflow 0
		.amdhsa_tg_split 0
		.amdhsa_exception_fp_ieee_invalid_op 0
		.amdhsa_exception_fp_denorm_src 0
		.amdhsa_exception_fp_ieee_div_zero 0
		.amdhsa_exception_fp_ieee_overflow 0
		.amdhsa_exception_fp_ieee_underflow 0
		.amdhsa_exception_fp_ieee_inexact 0
		.amdhsa_exception_int_div_zero 0
	.end_amdhsa_kernel
	.section	.text._ZL13convert_unaryIf14__hip_bfloat16EvPKvPT0_lll15HIP_vector_typeIjLj3EElll,"axG",@progbits,_ZL13convert_unaryIf14__hip_bfloat16EvPKvPT0_lll15HIP_vector_typeIjLj3EElll,comdat
.Lfunc_end46:
	.size	_ZL13convert_unaryIf14__hip_bfloat16EvPKvPT0_lll15HIP_vector_typeIjLj3EElll, .Lfunc_end46-_ZL13convert_unaryIf14__hip_bfloat16EvPKvPT0_lll15HIP_vector_typeIjLj3EElll
                                        ; -- End function
	.section	.AMDGPU.csdata,"",@progbits
; Kernel info:
; codeLenInByte = 1936
; NumSgprs: 95
; NumVgprs: 22
; NumAgprs: 0
; TotalNumVgprs: 22
; ScratchSize: 0
; MemoryBound: 0
; FloatMode: 240
; IeeeMode: 1
; LDSByteSize: 0 bytes/workgroup (compile time only)
; SGPRBlocks: 11
; VGPRBlocks: 2
; NumSGPRsForWavesPerEU: 95
; NumVGPRsForWavesPerEU: 22
; AccumOffset: 24
; Occupancy: 8
; WaveLimiterHint : 0
; COMPUTE_PGM_RSRC2:SCRATCH_EN: 0
; COMPUTE_PGM_RSRC2:USER_SGPR: 2
; COMPUTE_PGM_RSRC2:TRAP_HANDLER: 0
; COMPUTE_PGM_RSRC2:TGID_X_EN: 1
; COMPUTE_PGM_RSRC2:TGID_Y_EN: 1
; COMPUTE_PGM_RSRC2:TGID_Z_EN: 1
; COMPUTE_PGM_RSRC2:TIDIG_COMP_CNT: 0
; COMPUTE_PGM_RSRC3_GFX90A:ACCUM_OFFSET: 5
; COMPUTE_PGM_RSRC3_GFX90A:TG_SPLIT: 0
	.section	.text._ZL16dequantize_blockILi128ELi1EXadL_ZL15dequantize_q1_0PKvliR15HIP_vector_typeIfLj2EEEE14__hip_bfloat16EvS1_PT2_lllS2_IjLj3EElll,"axG",@progbits,_ZL16dequantize_blockILi128ELi1EXadL_ZL15dequantize_q1_0PKvliR15HIP_vector_typeIfLj2EEEE14__hip_bfloat16EvS1_PT2_lllS2_IjLj3EElll,comdat
	.globl	_ZL16dequantize_blockILi128ELi1EXadL_ZL15dequantize_q1_0PKvliR15HIP_vector_typeIfLj2EEEE14__hip_bfloat16EvS1_PT2_lllS2_IjLj3EElll ; -- Begin function _ZL16dequantize_blockILi128ELi1EXadL_ZL15dequantize_q1_0PKvliR15HIP_vector_typeIfLj2EEEE14__hip_bfloat16EvS1_PT2_lllS2_IjLj3EElll
	.p2align	8
	.type	_ZL16dequantize_blockILi128ELi1EXadL_ZL15dequantize_q1_0PKvliR15HIP_vector_typeIfLj2EEEE14__hip_bfloat16EvS1_PT2_lllS2_IjLj3EElll,@function
_ZL16dequantize_blockILi128ELi1EXadL_ZL15dequantize_q1_0PKvliR15HIP_vector_typeIfLj2EEEE14__hip_bfloat16EvS1_PT2_lllS2_IjLj3EElll: ; @_ZL16dequantize_blockILi128ELi1EXadL_ZL15dequantize_q1_0PKvliR15HIP_vector_typeIfLj2EEEE14__hip_bfloat16EvS1_PT2_lllS2_IjLj3EElll
; %bb.0:
	s_mov_b32 s6, s3
	s_load_dword s3, s[0:1], 0x5c
	s_load_dwordx4 s[20:23], s[0:1], 0x10
	s_add_u32 s24, s0, 0x50
	s_addc_u32 s25, s1, 0
	v_mov_b32_e32 v1, 0
	s_waitcnt lgkmcnt(0)
	s_and_b32 s5, s3, 0xffff
	v_mov_b32_e32 v2, s2
	v_mad_u64_u32 v[2:3], s[8:9], s5, v2, v[0:1]
	v_lshlrev_b64 v[6:7], 1, v[2:3]
	v_cmp_gt_i64_e32 vcc, s[20:21], v[6:7]
	s_and_saveexec_b64 s[8:9], vcc
	s_cbranch_execz .LBB47_15
; %bb.1:
	s_load_dwordx2 s[28:29], s[0:1], 0x20
	s_mov_b32 s7, 0
	v_mov_b64_e32 v[4:5], s[22:23]
	v_cmp_ge_i64_e32 vcc, s[6:7], v[4:5]
	s_cbranch_vccnz .LBB47_15
; %bb.2:
	s_load_dwordx4 s[16:19], s[0:1], 0x0
	s_load_dwordx8 s[8:15], s[0:1], 0x28
	s_load_dwordx2 s[26:27], s[0:1], 0x48
	s_mul_i32 s0, s23, s4
	s_mul_hi_u32 s1, s22, s4
	s_add_i32 s1, s1, s0
	s_mul_i32 s0, s22, s4
	s_load_dword s30, s[24:25], 0x4
	s_add_u32 s0, s0, s6
	s_addc_u32 s1, s1, 0
	s_mul_i32 s1, s20, s1
	s_waitcnt lgkmcnt(0)
	s_mul_hi_u32 s11, s20, s0
	v_lshrrev_b64 v[2:3], 6, v[2:3]
	s_add_i32 s1, s11, s1
	s_mul_i32 s11, s21, s0
	v_bfe_u32 v4, v6, 3, 4
	v_and_b32_e32 v12, 6, v6
	s_add_i32 s1, s1, s11
	s_mul_i32 s0, s20, s0
	v_lshlrev_b64 v[6:7], 8, v[2:3]
	v_mov_b32_e32 v1, s3
	v_lshl_add_u64 v[6:7], s[0:1], 1, v[6:7]
	v_mad_legacy_u16 v0, s2, v1, v0
	s_mul_i32 s0, s21, s30
	s_mul_hi_u32 s1, s20, s30
	v_mov_b32_e32 v5, 0
	v_and_b32_e32 v0, 63, v0
	s_add_i32 s1, s1, s0
	s_mul_i32 s0, s20, s30
	s_mov_b32 s5, s7
	v_mov_b64_e32 v[8:9], s[28:29]
	v_lshlrev_b32_e32 v0, 2, v0
	v_mov_b32_e32 v1, v5
	s_lshl_b64 s[2:3], s[0:1], 1
	s_mul_i32 s0, s22, s21
	s_mul_hi_u32 s1, s22, s20
	v_lshl_add_u64 v[0:1], v[6:7], 0, v[0:1]
	s_add_i32 s0, s1, s0
	s_mul_i32 s1, s23, s20
	v_cmp_lt_i64_e32 vcc, s[4:5], v[8:9]
	v_lshl_add_u64 v[0:1], v[0:1], 0, s[18:19]
	s_add_i32 s1, s0, s1
	s_mul_i32 s0, s22, s20
	v_cndmask_b32_e64 v10, 0, 1, vcc
	v_or_b32_e32 v13, 1, v12
	v_lshl_add_u64 v[0:1], v[0:1], 0, 2
	s_lshl_b64 s[18:19], s[0:1], 1
	s_sub_i32 s31, 0, s10
	s_mov_b32 s33, 0x7f800000
	s_movk_i32 s34, 0x7fff
	v_mov_b64_e32 v[6:7], s[28:29]
	v_mov_b64_e32 v[8:9], s[22:23]
	v_cmp_ne_u32_e64 s[0:1], 1, v10
	s_branch .LBB47_4
.LBB47_3:                               ;   in Loop: Header=BB47_4 Depth=1
	s_add_u32 s6, s6, s30
	s_addc_u32 s7, s7, 0
	v_cmp_ge_i64_e32 vcc, s[6:7], v[8:9]
	v_lshl_add_u64 v[0:1], v[0:1], 0, s[2:3]
	s_cbranch_vccnz .LBB47_15
.LBB47_4:                               ; =>This Loop Header: Depth=1
                                        ;     Child Loop BB47_7 Depth 2
	s_and_b64 vcc, exec, s[0:1]
	s_cbranch_vccnz .LBB47_3
; %bb.5:                                ;   in Loop: Header=BB47_4 Depth=1
	s_load_dword s28, s[24:25], 0x8
	s_mul_i32 s10, s6, s13
	s_mul_hi_u32 s11, s6, s12
	s_add_i32 s10, s11, s10
	s_mul_i32 s11, s7, s12
	s_add_i32 s29, s10, s11
	s_waitcnt lgkmcnt(0)
	s_mul_i32 s10, s19, s28
	s_mul_hi_u32 s11, s18, s28
	s_mul_i32 s35, s6, s12
	s_add_i32 s11, s11, s10
	s_mul_i32 s10, s18, s28
	v_mov_b64_e32 v[10:11], v[0:1]
	s_mov_b64 s[20:21], s[4:5]
	s_branch .LBB47_7
.LBB47_6:                               ;   in Loop: Header=BB47_7 Depth=2
	s_or_b64 exec, exec, s[22:23]
	s_add_u32 s20, s20, s28
	s_addc_u32 s21, s21, 0
	v_cmp_ge_i64_e32 vcc, s[20:21], v[6:7]
	global_store_short_d16_hi v[10:11], v15, off
	v_lshl_add_u64 v[10:11], v[10:11], 0, s[10:11]
	s_cbranch_vccnz .LBB47_3
.LBB47_7:                               ;   Parent Loop BB47_4 Depth=1
                                        ; =>  This Inner Loop Header: Depth=2
	s_mul_hi_u32 s22, s8, s20
	s_add_i32 s22, s20, s22
	s_lshr_b32 s22, s22, s9
	s_mul_i32 s23, s31, s22
	s_add_i32 s23, s20, s23
	s_mul_i32 s36, s22, s27
	s_mul_hi_u32 s37, s22, s26
	s_add_i32 s36, s37, s36
	s_mul_i32 s22, s22, s26
	s_mul_i32 s37, s23, s15
	s_mul_hi_u32 s38, s23, s14
	s_add_i32 s37, s38, s37
	s_mul_i32 s36, s36, 18
	s_mul_hi_u32 s38, s22, 18
	s_add_i32 s38, s38, s36
	s_mul_i32 s22, s22, 18
	s_mul_i32 s23, s23, s14
	s_add_u32 s22, s16, s22
	s_addc_u32 s36, s17, s38
	s_mul_i32 s37, s37, 18
	s_mul_hi_u32 s38, s23, 18
	s_add_i32 s38, s38, s37
	s_mul_i32 s23, s23, 18
	s_add_u32 s22, s22, s23
	s_addc_u32 s23, s36, s38
	s_mul_i32 s36, s29, 18
	s_mul_hi_u32 s37, s35, 18
	s_add_i32 s37, s37, s36
	s_mul_i32 s36, s35, 18
	s_add_u32 s22, s22, s36
	s_addc_u32 s23, s23, s37
	v_mad_u64_u32 v[16:17], s[22:23], v2, 18, s[22:23]
	v_mov_b32_e32 v14, v17
	v_mad_u64_u32 v[14:15], s[22:23], v3, 18, v[14:15]
	v_mov_b32_e32 v17, v14
	v_lshl_add_u64 v[18:19], v[16:17], 0, v[4:5]
	global_load_ushort v14, v[16:17], off
	global_load_ubyte v15, v[18:19], off offset:2
	s_waitcnt vmcnt(1)
	v_cvt_f32_f16_e32 v14, v14
	s_waitcnt vmcnt(0)
	v_lshrrev_b32_e32 v16, v12, v15
	v_lshlrev_b32_e32 v16, 1, v16
	v_and_b32_e32 v16, 2, v16
	v_add_u32_e32 v16, -1, v16
	v_cvt_f32_i32_e32 v16, v16
	v_mul_f32_e32 v17, v14, v16
	v_and_b32_e32 v16, 0x7f800000, v17
	v_cmp_ne_u32_e32 vcc, s33, v16
                                        ; implicit-def: $vgpr16
	s_and_saveexec_b64 s[22:23], vcc
	s_xor_b64 s[22:23], exec, s[22:23]
; %bb.8:                                ;   in Loop: Header=BB47_7 Depth=2
	v_bfe_u32 v16, v17, 16, 1
	v_add3_u32 v16, v17, v16, s34
                                        ; implicit-def: $vgpr17
; %bb.9:                                ;   in Loop: Header=BB47_7 Depth=2
	s_andn2_saveexec_b64 s[22:23], s[22:23]
; %bb.10:                               ;   in Loop: Header=BB47_7 Depth=2
	v_or_b32_e32 v16, 0x10000, v17
	v_cmp_eq_u32_sdwa vcc, v17, v5 src0_sel:WORD_0 src1_sel:DWORD
	s_nop 1
	v_cndmask_b32_e32 v16, v16, v17, vcc
; %bb.11:                               ;   in Loop: Header=BB47_7 Depth=2
	s_or_b64 exec, exec, s[22:23]
	v_lshrrev_b32_e32 v15, v13, v15
	v_lshlrev_b32_e32 v15, 1, v15
	v_and_b32_e32 v15, 2, v15
	v_add_u32_e32 v15, -1, v15
	v_cvt_f32_i32_e32 v15, v15
	global_store_short_d16_hi v[10:11], v16, off offset:-2
	v_mul_f32_e32 v14, v14, v15
	v_and_b32_e32 v15, 0x7f800000, v14
	v_cmp_ne_u32_e32 vcc, s33, v15
                                        ; implicit-def: $vgpr15
	s_and_saveexec_b64 s[22:23], vcc
	s_xor_b64 s[22:23], exec, s[22:23]
; %bb.12:                               ;   in Loop: Header=BB47_7 Depth=2
	v_bfe_u32 v15, v14, 16, 1
	v_add3_u32 v15, v14, v15, s34
                                        ; implicit-def: $vgpr14
; %bb.13:                               ;   in Loop: Header=BB47_7 Depth=2
	s_andn2_saveexec_b64 s[22:23], s[22:23]
	s_cbranch_execz .LBB47_6
; %bb.14:                               ;   in Loop: Header=BB47_7 Depth=2
	v_or_b32_e32 v15, 0x10000, v14
	v_cmp_eq_u32_sdwa vcc, v14, v5 src0_sel:WORD_0 src1_sel:DWORD
	s_nop 1
	v_cndmask_b32_e32 v15, v15, v14, vcc
	s_branch .LBB47_6
.LBB47_15:
	s_endpgm
	.section	.rodata,"a",@progbits
	.p2align	6, 0x0
	.amdhsa_kernel _ZL16dequantize_blockILi128ELi1EXadL_ZL15dequantize_q1_0PKvliR15HIP_vector_typeIfLj2EEEE14__hip_bfloat16EvS1_PT2_lllS2_IjLj3EElll
		.amdhsa_group_segment_fixed_size 0
		.amdhsa_private_segment_fixed_size 0
		.amdhsa_kernarg_size 336
		.amdhsa_user_sgpr_count 2
		.amdhsa_user_sgpr_dispatch_ptr 0
		.amdhsa_user_sgpr_queue_ptr 0
		.amdhsa_user_sgpr_kernarg_segment_ptr 1
		.amdhsa_user_sgpr_dispatch_id 0
		.amdhsa_user_sgpr_kernarg_preload_length 0
		.amdhsa_user_sgpr_kernarg_preload_offset 0
		.amdhsa_user_sgpr_private_segment_size 0
		.amdhsa_uses_dynamic_stack 0
		.amdhsa_enable_private_segment 0
		.amdhsa_system_sgpr_workgroup_id_x 1
		.amdhsa_system_sgpr_workgroup_id_y 1
		.amdhsa_system_sgpr_workgroup_id_z 1
		.amdhsa_system_sgpr_workgroup_info 0
		.amdhsa_system_vgpr_workitem_id 0
		.amdhsa_next_free_vgpr 20
		.amdhsa_next_free_sgpr 39
		.amdhsa_accum_offset 20
		.amdhsa_reserve_vcc 1
		.amdhsa_float_round_mode_32 0
		.amdhsa_float_round_mode_16_64 0
		.amdhsa_float_denorm_mode_32 3
		.amdhsa_float_denorm_mode_16_64 3
		.amdhsa_dx10_clamp 1
		.amdhsa_ieee_mode 1
		.amdhsa_fp16_overflow 0
		.amdhsa_tg_split 0
		.amdhsa_exception_fp_ieee_invalid_op 0
		.amdhsa_exception_fp_denorm_src 0
		.amdhsa_exception_fp_ieee_div_zero 0
		.amdhsa_exception_fp_ieee_overflow 0
		.amdhsa_exception_fp_ieee_underflow 0
		.amdhsa_exception_fp_ieee_inexact 0
		.amdhsa_exception_int_div_zero 0
	.end_amdhsa_kernel
	.section	.text._ZL16dequantize_blockILi128ELi1EXadL_ZL15dequantize_q1_0PKvliR15HIP_vector_typeIfLj2EEEE14__hip_bfloat16EvS1_PT2_lllS2_IjLj3EElll,"axG",@progbits,_ZL16dequantize_blockILi128ELi1EXadL_ZL15dequantize_q1_0PKvliR15HIP_vector_typeIfLj2EEEE14__hip_bfloat16EvS1_PT2_lllS2_IjLj3EElll,comdat
.Lfunc_end47:
	.size	_ZL16dequantize_blockILi128ELi1EXadL_ZL15dequantize_q1_0PKvliR15HIP_vector_typeIfLj2EEEE14__hip_bfloat16EvS1_PT2_lllS2_IjLj3EElll, .Lfunc_end47-_ZL16dequantize_blockILi128ELi1EXadL_ZL15dequantize_q1_0PKvliR15HIP_vector_typeIfLj2EEEE14__hip_bfloat16EvS1_PT2_lllS2_IjLj3EElll
                                        ; -- End function
	.section	.AMDGPU.csdata,"",@progbits
; Kernel info:
; codeLenInByte = 900
; NumSgprs: 45
; NumVgprs: 20
; NumAgprs: 0
; TotalNumVgprs: 20
; ScratchSize: 0
; MemoryBound: 0
; FloatMode: 240
; IeeeMode: 1
; LDSByteSize: 0 bytes/workgroup (compile time only)
; SGPRBlocks: 5
; VGPRBlocks: 2
; NumSGPRsForWavesPerEU: 45
; NumVGPRsForWavesPerEU: 20
; AccumOffset: 20
; Occupancy: 8
; WaveLimiterHint : 0
; COMPUTE_PGM_RSRC2:SCRATCH_EN: 0
; COMPUTE_PGM_RSRC2:USER_SGPR: 2
; COMPUTE_PGM_RSRC2:TRAP_HANDLER: 0
; COMPUTE_PGM_RSRC2:TGID_X_EN: 1
; COMPUTE_PGM_RSRC2:TGID_Y_EN: 1
; COMPUTE_PGM_RSRC2:TGID_Z_EN: 1
; COMPUTE_PGM_RSRC2:TIDIG_COMP_CNT: 0
; COMPUTE_PGM_RSRC3_GFX90A:ACCUM_OFFSET: 4
; COMPUTE_PGM_RSRC3_GFX90A:TG_SPLIT: 0
	.section	.text._ZL16dequantize_blockILi32ELi2EXadL_ZL15dequantize_q4_0PKvliR15HIP_vector_typeIfLj2EEEE14__hip_bfloat16EvS1_PT2_lllS2_IjLj3EElll,"axG",@progbits,_ZL16dequantize_blockILi32ELi2EXadL_ZL15dequantize_q4_0PKvliR15HIP_vector_typeIfLj2EEEE14__hip_bfloat16EvS1_PT2_lllS2_IjLj3EElll,comdat
	.globl	_ZL16dequantize_blockILi32ELi2EXadL_ZL15dequantize_q4_0PKvliR15HIP_vector_typeIfLj2EEEE14__hip_bfloat16EvS1_PT2_lllS2_IjLj3EElll ; -- Begin function _ZL16dequantize_blockILi32ELi2EXadL_ZL15dequantize_q4_0PKvliR15HIP_vector_typeIfLj2EEEE14__hip_bfloat16EvS1_PT2_lllS2_IjLj3EElll
	.p2align	8
	.type	_ZL16dequantize_blockILi32ELi2EXadL_ZL15dequantize_q4_0PKvliR15HIP_vector_typeIfLj2EEEE14__hip_bfloat16EvS1_PT2_lllS2_IjLj3EElll,@function
_ZL16dequantize_blockILi32ELi2EXadL_ZL15dequantize_q4_0PKvliR15HIP_vector_typeIfLj2EEEE14__hip_bfloat16EvS1_PT2_lllS2_IjLj3EElll: ; @_ZL16dequantize_blockILi32ELi2EXadL_ZL15dequantize_q4_0PKvliR15HIP_vector_typeIfLj2EEEE14__hip_bfloat16EvS1_PT2_lllS2_IjLj3EElll
; %bb.0:
	s_mov_b32 s6, s3
	s_load_dword s3, s[0:1], 0x5c
	s_load_dwordx4 s[20:23], s[0:1], 0x10
	s_add_u32 s24, s0, 0x50
	s_addc_u32 s25, s1, 0
	v_mov_b32_e32 v1, 0
	s_waitcnt lgkmcnt(0)
	s_and_b32 s3, s3, 0xffff
	v_mov_b32_e32 v2, s2
	v_mad_u64_u32 v[2:3], s[2:3], s3, v2, v[0:1]
	v_lshlrev_b64 v[0:1], 1, v[2:3]
	v_cmp_gt_i64_e32 vcc, s[20:21], v[0:1]
	s_and_saveexec_b64 s[2:3], vcc
	s_cbranch_execz .LBB48_15
; %bb.1:
	s_load_dwordx2 s[26:27], s[0:1], 0x20
	s_mov_b32 s7, 0
	v_mov_b64_e32 v[0:1], s[22:23]
	v_cmp_ge_i64_e32 vcc, s[6:7], v[0:1]
	s_cbranch_vccnz .LBB48_15
; %bb.2:
	s_load_dwordx4 s[16:19], s[0:1], 0x0
	s_load_dwordx8 s[8:15], s[0:1], 0x28
	s_load_dwordx2 s[2:3], s[0:1], 0x48
	s_mul_i32 s0, s23, s4
	s_mul_hi_u32 s1, s22, s4
	s_add_i32 s1, s1, s0
	s_mul_i32 s0, s22, s4
	s_load_dword s28, s[24:25], 0x4
	s_add_u32 s0, s0, s6
	s_addc_u32 s1, s1, 0
	s_mul_i32 s1, s20, s1
	s_waitcnt lgkmcnt(0)
	s_mul_hi_u32 s11, s20, s0
	v_lshrrev_b64 v[0:1], 4, v[2:3]
	s_add_i32 s1, s11, s1
	s_mul_i32 s11, s21, s0
	v_and_b32_e32 v2, 15, v2
	v_mov_b32_e32 v3, 0
	s_add_i32 s1, s1, s11
	s_mul_i32 s0, s20, s0
	v_lshlrev_b64 v[4:5], 6, v[0:1]
	v_lshl_add_u64 v[4:5], s[0:1], 1, v[4:5]
	v_lshlrev_b32_e32 v8, 1, v2
	v_mov_b32_e32 v9, v3
	s_mul_i32 s0, s21, s28
	s_mul_hi_u32 s1, s20, s28
	v_lshl_add_u64 v[4:5], v[4:5], 0, v[8:9]
	s_add_i32 s1, s1, s0
	s_mul_i32 s0, s20, s28
	s_mov_b32 s5, s7
	v_mov_b64_e32 v[6:7], s[26:27]
	v_lshl_add_u64 v[4:5], v[4:5], 0, s[18:19]
	s_lshl_b64 s[18:19], s[0:1], 1
	s_mul_i32 s0, s22, s21
	s_mul_hi_u32 s1, s22, s20
	s_add_i32 s0, s1, s0
	s_mul_i32 s1, s23, s20
	v_cmp_lt_i64_e32 vcc, s[4:5], v[6:7]
	s_add_i32 s1, s0, s1
	s_mul_i32 s0, s22, s20
	v_cndmask_b32_e64 v10, 0, 1, vcc
	v_lshl_add_u64 v[4:5], v[4:5], 0, 32
	s_lshl_b64 s[20:21], s[0:1], 1
	s_sub_i32 s29, 0, s10
	s_mov_b32 s30, 0x7f800000
	s_movk_i32 s31, 0x7fff
	v_mov_b64_e32 v[8:9], s[22:23]
	v_cmp_ne_u32_e64 s[0:1], 1, v10
	s_branch .LBB48_4
.LBB48_3:                               ;   in Loop: Header=BB48_4 Depth=1
	s_add_u32 s6, s6, s28
	s_addc_u32 s7, s7, 0
	v_cmp_ge_i64_e32 vcc, s[6:7], v[8:9]
	v_lshl_add_u64 v[4:5], v[4:5], 0, s[18:19]
	s_cbranch_vccnz .LBB48_15
.LBB48_4:                               ; =>This Loop Header: Depth=1
                                        ;     Child Loop BB48_7 Depth 2
	s_and_b64 vcc, exec, s[0:1]
	s_cbranch_vccnz .LBB48_3
; %bb.5:                                ;   in Loop: Header=BB48_4 Depth=1
	s_load_dword s33, s[24:25], 0x8
	s_mul_i32 s10, s6, s13
	s_mul_hi_u32 s11, s6, s12
	s_add_i32 s10, s11, s10
	s_mul_i32 s11, s7, s12
	s_add_i32 s34, s10, s11
	s_waitcnt lgkmcnt(0)
	s_mul_i32 s10, s21, s33
	s_mul_hi_u32 s11, s20, s33
	s_mul_i32 s35, s6, s12
	s_add_i32 s11, s11, s10
	s_mul_i32 s10, s20, s33
	v_mov_b64_e32 v[10:11], v[4:5]
	s_mov_b64 s[22:23], s[4:5]
	s_branch .LBB48_7
.LBB48_6:                               ;   in Loop: Header=BB48_7 Depth=2
	s_or_b64 exec, exec, s[26:27]
	s_add_u32 s22, s22, s33
	s_addc_u32 s23, s23, 0
	v_cmp_ge_i64_e32 vcc, s[22:23], v[6:7]
	global_store_short_d16_hi v[10:11], v13, off
	v_lshl_add_u64 v[10:11], v[10:11], 0, s[10:11]
	s_cbranch_vccnz .LBB48_3
.LBB48_7:                               ;   Parent Loop BB48_4 Depth=1
                                        ; =>  This Inner Loop Header: Depth=2
	s_mul_hi_u32 s26, s8, s22
	s_add_i32 s26, s22, s26
	s_lshr_b32 s26, s26, s9
	s_mul_i32 s27, s29, s26
	s_add_i32 s27, s22, s27
	s_mul_i32 s36, s26, s3
	s_mul_hi_u32 s37, s26, s2
	s_add_i32 s36, s37, s36
	s_mul_i32 s26, s26, s2
	s_mul_i32 s37, s27, s15
	s_mul_hi_u32 s38, s27, s14
	s_add_i32 s37, s38, s37
	s_mul_i32 s36, s36, 18
	s_mul_hi_u32 s38, s26, 18
	s_add_i32 s38, s38, s36
	s_mul_i32 s26, s26, 18
	s_mul_i32 s27, s27, s14
	s_add_u32 s26, s16, s26
	s_addc_u32 s36, s17, s38
	s_mul_i32 s37, s37, 18
	s_mul_hi_u32 s38, s27, 18
	s_add_i32 s38, s38, s37
	s_mul_i32 s27, s27, 18
	s_add_u32 s26, s26, s27
	s_addc_u32 s27, s36, s38
	s_mul_i32 s36, s34, 18
	s_mul_hi_u32 s37, s35, 18
	s_add_i32 s37, s37, s36
	s_mul_i32 s36, s35, 18
	s_add_u32 s26, s26, s36
	s_addc_u32 s27, s27, s37
	v_mad_u64_u32 v[14:15], s[26:27], v0, 18, s[26:27]
	v_mov_b32_e32 v12, v15
	v_mad_u64_u32 v[12:13], s[26:27], v1, 18, v[12:13]
	v_mov_b32_e32 v15, v12
	v_lshl_add_u64 v[16:17], v[14:15], 0, v[2:3]
	global_load_ushort v12, v[14:15], off
	global_load_ubyte v13, v[16:17], off offset:2
	s_waitcnt vmcnt(1)
	v_cvt_f32_f16_e32 v12, v12
	s_waitcnt vmcnt(0)
	v_and_b32_e32 v14, 15, v13
	v_add_u32_e32 v14, -8, v14
	v_cvt_f32_i32_e32 v14, v14
	v_mul_f32_e32 v15, v12, v14
	v_and_b32_e32 v14, 0x7f800000, v15
	v_cmp_ne_u32_e32 vcc, s30, v14
                                        ; implicit-def: $vgpr14
	s_and_saveexec_b64 s[26:27], vcc
	s_xor_b64 s[26:27], exec, s[26:27]
; %bb.8:                                ;   in Loop: Header=BB48_7 Depth=2
	v_bfe_u32 v14, v15, 16, 1
	v_add3_u32 v14, v15, v14, s31
                                        ; implicit-def: $vgpr15
; %bb.9:                                ;   in Loop: Header=BB48_7 Depth=2
	s_andn2_saveexec_b64 s[26:27], s[26:27]
; %bb.10:                               ;   in Loop: Header=BB48_7 Depth=2
	v_or_b32_e32 v14, 0x10000, v15
	v_cmp_eq_u32_sdwa vcc, v15, v3 src0_sel:WORD_0 src1_sel:DWORD
	s_nop 1
	v_cndmask_b32_e32 v14, v14, v15, vcc
; %bb.11:                               ;   in Loop: Header=BB48_7 Depth=2
	s_or_b64 exec, exec, s[26:27]
	v_lshrrev_b32_e32 v13, 4, v13
	v_add_u32_e32 v13, -8, v13
	v_cvt_f32_i32_e32 v13, v13
	global_store_short_d16_hi v[10:11], v14, off offset:-32
	v_mul_f32_e32 v12, v12, v13
	v_and_b32_e32 v13, 0x7f800000, v12
	v_cmp_ne_u32_e32 vcc, s30, v13
                                        ; implicit-def: $vgpr13
	s_and_saveexec_b64 s[26:27], vcc
	s_xor_b64 s[26:27], exec, s[26:27]
; %bb.12:                               ;   in Loop: Header=BB48_7 Depth=2
	v_bfe_u32 v13, v12, 16, 1
	v_add3_u32 v13, v12, v13, s31
                                        ; implicit-def: $vgpr12
; %bb.13:                               ;   in Loop: Header=BB48_7 Depth=2
	s_andn2_saveexec_b64 s[26:27], s[26:27]
	s_cbranch_execz .LBB48_6
; %bb.14:                               ;   in Loop: Header=BB48_7 Depth=2
	v_or_b32_e32 v13, 0x10000, v12
	v_cmp_eq_u32_sdwa vcc, v12, v3 src0_sel:WORD_0 src1_sel:DWORD
	s_nop 1
	v_cndmask_b32_e32 v13, v13, v12, vcc
	s_branch .LBB48_6
.LBB48_15:
	s_endpgm
	.section	.rodata,"a",@progbits
	.p2align	6, 0x0
	.amdhsa_kernel _ZL16dequantize_blockILi32ELi2EXadL_ZL15dequantize_q4_0PKvliR15HIP_vector_typeIfLj2EEEE14__hip_bfloat16EvS1_PT2_lllS2_IjLj3EElll
		.amdhsa_group_segment_fixed_size 0
		.amdhsa_private_segment_fixed_size 0
		.amdhsa_kernarg_size 336
		.amdhsa_user_sgpr_count 2
		.amdhsa_user_sgpr_dispatch_ptr 0
		.amdhsa_user_sgpr_queue_ptr 0
		.amdhsa_user_sgpr_kernarg_segment_ptr 1
		.amdhsa_user_sgpr_dispatch_id 0
		.amdhsa_user_sgpr_kernarg_preload_length 0
		.amdhsa_user_sgpr_kernarg_preload_offset 0
		.amdhsa_user_sgpr_private_segment_size 0
		.amdhsa_uses_dynamic_stack 0
		.amdhsa_enable_private_segment 0
		.amdhsa_system_sgpr_workgroup_id_x 1
		.amdhsa_system_sgpr_workgroup_id_y 1
		.amdhsa_system_sgpr_workgroup_id_z 1
		.amdhsa_system_sgpr_workgroup_info 0
		.amdhsa_system_vgpr_workitem_id 0
		.amdhsa_next_free_vgpr 18
		.amdhsa_next_free_sgpr 39
		.amdhsa_accum_offset 20
		.amdhsa_reserve_vcc 1
		.amdhsa_float_round_mode_32 0
		.amdhsa_float_round_mode_16_64 0
		.amdhsa_float_denorm_mode_32 3
		.amdhsa_float_denorm_mode_16_64 3
		.amdhsa_dx10_clamp 1
		.amdhsa_ieee_mode 1
		.amdhsa_fp16_overflow 0
		.amdhsa_tg_split 0
		.amdhsa_exception_fp_ieee_invalid_op 0
		.amdhsa_exception_fp_denorm_src 0
		.amdhsa_exception_fp_ieee_div_zero 0
		.amdhsa_exception_fp_ieee_overflow 0
		.amdhsa_exception_fp_ieee_underflow 0
		.amdhsa_exception_fp_ieee_inexact 0
		.amdhsa_exception_int_div_zero 0
	.end_amdhsa_kernel
	.section	.text._ZL16dequantize_blockILi32ELi2EXadL_ZL15dequantize_q4_0PKvliR15HIP_vector_typeIfLj2EEEE14__hip_bfloat16EvS1_PT2_lllS2_IjLj3EElll,"axG",@progbits,_ZL16dequantize_blockILi32ELi2EXadL_ZL15dequantize_q4_0PKvliR15HIP_vector_typeIfLj2EEEE14__hip_bfloat16EvS1_PT2_lllS2_IjLj3EElll,comdat
.Lfunc_end48:
	.size	_ZL16dequantize_blockILi32ELi2EXadL_ZL15dequantize_q4_0PKvliR15HIP_vector_typeIfLj2EEEE14__hip_bfloat16EvS1_PT2_lllS2_IjLj3EElll, .Lfunc_end48-_ZL16dequantize_blockILi32ELi2EXadL_ZL15dequantize_q4_0PKvliR15HIP_vector_typeIfLj2EEEE14__hip_bfloat16EvS1_PT2_lllS2_IjLj3EElll
                                        ; -- End function
	.section	.AMDGPU.csdata,"",@progbits
; Kernel info:
; codeLenInByte = 852
; NumSgprs: 45
; NumVgprs: 18
; NumAgprs: 0
; TotalNumVgprs: 18
; ScratchSize: 0
; MemoryBound: 0
; FloatMode: 240
; IeeeMode: 1
; LDSByteSize: 0 bytes/workgroup (compile time only)
; SGPRBlocks: 5
; VGPRBlocks: 2
; NumSGPRsForWavesPerEU: 45
; NumVGPRsForWavesPerEU: 18
; AccumOffset: 20
; Occupancy: 8
; WaveLimiterHint : 0
; COMPUTE_PGM_RSRC2:SCRATCH_EN: 0
; COMPUTE_PGM_RSRC2:USER_SGPR: 2
; COMPUTE_PGM_RSRC2:TRAP_HANDLER: 0
; COMPUTE_PGM_RSRC2:TGID_X_EN: 1
; COMPUTE_PGM_RSRC2:TGID_Y_EN: 1
; COMPUTE_PGM_RSRC2:TGID_Z_EN: 1
; COMPUTE_PGM_RSRC2:TIDIG_COMP_CNT: 0
; COMPUTE_PGM_RSRC3_GFX90A:ACCUM_OFFSET: 4
; COMPUTE_PGM_RSRC3_GFX90A:TG_SPLIT: 0
	.section	.text._ZL16dequantize_blockILi32ELi2EXadL_ZL15dequantize_q4_1PKvliR15HIP_vector_typeIfLj2EEEE14__hip_bfloat16EvS1_PT2_lllS2_IjLj3EElll,"axG",@progbits,_ZL16dequantize_blockILi32ELi2EXadL_ZL15dequantize_q4_1PKvliR15HIP_vector_typeIfLj2EEEE14__hip_bfloat16EvS1_PT2_lllS2_IjLj3EElll,comdat
	.globl	_ZL16dequantize_blockILi32ELi2EXadL_ZL15dequantize_q4_1PKvliR15HIP_vector_typeIfLj2EEEE14__hip_bfloat16EvS1_PT2_lllS2_IjLj3EElll ; -- Begin function _ZL16dequantize_blockILi32ELi2EXadL_ZL15dequantize_q4_1PKvliR15HIP_vector_typeIfLj2EEEE14__hip_bfloat16EvS1_PT2_lllS2_IjLj3EElll
	.p2align	8
	.type	_ZL16dequantize_blockILi32ELi2EXadL_ZL15dequantize_q4_1PKvliR15HIP_vector_typeIfLj2EEEE14__hip_bfloat16EvS1_PT2_lllS2_IjLj3EElll,@function
_ZL16dequantize_blockILi32ELi2EXadL_ZL15dequantize_q4_1PKvliR15HIP_vector_typeIfLj2EEEE14__hip_bfloat16EvS1_PT2_lllS2_IjLj3EElll: ; @_ZL16dequantize_blockILi32ELi2EXadL_ZL15dequantize_q4_1PKvliR15HIP_vector_typeIfLj2EEEE14__hip_bfloat16EvS1_PT2_lllS2_IjLj3EElll
; %bb.0:
	s_mov_b32 s6, s3
	s_load_dword s3, s[0:1], 0x5c
	s_load_dwordx4 s[20:23], s[0:1], 0x10
	s_add_u32 s24, s0, 0x50
	s_addc_u32 s25, s1, 0
	v_mov_b32_e32 v1, 0
	s_waitcnt lgkmcnt(0)
	s_and_b32 s3, s3, 0xffff
	v_mov_b32_e32 v2, s2
	v_mad_u64_u32 v[2:3], s[2:3], s3, v2, v[0:1]
	v_lshlrev_b64 v[0:1], 1, v[2:3]
	v_cmp_gt_i64_e32 vcc, s[20:21], v[0:1]
	s_and_saveexec_b64 s[2:3], vcc
	s_cbranch_execz .LBB49_15
; %bb.1:
	s_load_dwordx2 s[26:27], s[0:1], 0x20
	s_mov_b32 s7, 0
	v_mov_b64_e32 v[0:1], s[22:23]
	v_cmp_ge_i64_e32 vcc, s[6:7], v[0:1]
	s_cbranch_vccnz .LBB49_15
; %bb.2:
	s_load_dwordx4 s[16:19], s[0:1], 0x0
	s_load_dwordx8 s[8:15], s[0:1], 0x28
	s_load_dwordx2 s[2:3], s[0:1], 0x48
	s_mul_i32 s0, s23, s4
	s_mul_hi_u32 s1, s22, s4
	s_add_i32 s1, s1, s0
	s_mul_i32 s0, s22, s4
	s_load_dword s28, s[24:25], 0x4
	s_add_u32 s0, s0, s6
	s_addc_u32 s1, s1, 0
	s_mul_i32 s1, s20, s1
	s_waitcnt lgkmcnt(0)
	s_mul_hi_u32 s11, s20, s0
	v_lshrrev_b64 v[0:1], 4, v[2:3]
	s_add_i32 s1, s11, s1
	s_mul_i32 s11, s21, s0
	v_and_b32_e32 v2, 15, v2
	v_mov_b32_e32 v3, 0
	s_add_i32 s1, s1, s11
	s_mul_i32 s0, s20, s0
	v_lshlrev_b64 v[4:5], 6, v[0:1]
	v_lshl_add_u64 v[4:5], s[0:1], 1, v[4:5]
	v_lshlrev_b32_e32 v8, 1, v2
	v_mov_b32_e32 v9, v3
	s_mul_i32 s0, s21, s28
	s_mul_hi_u32 s1, s20, s28
	v_lshl_add_u64 v[4:5], v[4:5], 0, v[8:9]
	s_add_i32 s1, s1, s0
	s_mul_i32 s0, s20, s28
	s_mov_b32 s5, s7
	v_mov_b64_e32 v[6:7], s[26:27]
	v_lshl_add_u64 v[4:5], v[4:5], 0, s[18:19]
	s_lshl_b64 s[18:19], s[0:1], 1
	s_mul_i32 s0, s22, s21
	s_mul_hi_u32 s1, s22, s20
	s_add_i32 s0, s1, s0
	s_mul_i32 s1, s23, s20
	v_cmp_lt_i64_e32 vcc, s[4:5], v[6:7]
	s_add_i32 s1, s0, s1
	s_mul_i32 s0, s22, s20
	v_cndmask_b32_e64 v10, 0, 1, vcc
	v_lshl_add_u64 v[4:5], v[4:5], 0, 32
	s_lshl_b64 s[20:21], s[0:1], 1
	s_sub_i32 s29, 0, s10
	s_mov_b32 s30, 0x7f800000
	s_movk_i32 s31, 0x7fff
	v_mov_b64_e32 v[8:9], s[22:23]
	v_cmp_ne_u32_e64 s[0:1], 1, v10
	s_branch .LBB49_4
.LBB49_3:                               ;   in Loop: Header=BB49_4 Depth=1
	s_add_u32 s6, s6, s28
	s_addc_u32 s7, s7, 0
	v_cmp_ge_i64_e32 vcc, s[6:7], v[8:9]
	v_lshl_add_u64 v[4:5], v[4:5], 0, s[18:19]
	s_cbranch_vccnz .LBB49_15
.LBB49_4:                               ; =>This Loop Header: Depth=1
                                        ;     Child Loop BB49_7 Depth 2
	s_and_b64 vcc, exec, s[0:1]
	s_cbranch_vccnz .LBB49_3
; %bb.5:                                ;   in Loop: Header=BB49_4 Depth=1
	s_load_dword s33, s[24:25], 0x8
	s_mul_i32 s10, s6, s13
	s_mul_hi_u32 s11, s6, s12
	s_add_i32 s10, s11, s10
	s_mul_i32 s11, s7, s12
	s_add_i32 s34, s10, s11
	s_waitcnt lgkmcnt(0)
	s_mul_i32 s10, s21, s33
	s_mul_hi_u32 s11, s20, s33
	s_mul_i32 s35, s6, s12
	s_add_i32 s11, s11, s10
	s_mul_i32 s10, s20, s33
	v_mov_b64_e32 v[10:11], v[4:5]
	s_mov_b64 s[22:23], s[4:5]
	s_branch .LBB49_7
.LBB49_6:                               ;   in Loop: Header=BB49_7 Depth=2
	s_or_b64 exec, exec, s[26:27]
	s_add_u32 s22, s22, s33
	s_addc_u32 s23, s23, 0
	v_cmp_ge_i64_e32 vcc, s[22:23], v[6:7]
	global_store_short_d16_hi v[10:11], v12, off
	v_lshl_add_u64 v[10:11], v[10:11], 0, s[10:11]
	s_cbranch_vccnz .LBB49_3
.LBB49_7:                               ;   Parent Loop BB49_4 Depth=1
                                        ; =>  This Inner Loop Header: Depth=2
	s_mul_hi_u32 s26, s8, s22
	s_add_i32 s26, s22, s26
	s_lshr_b32 s26, s26, s9
	s_mul_i32 s27, s29, s26
	s_add_i32 s27, s22, s27
	s_mul_i32 s36, s26, s3
	s_mul_hi_u32 s37, s26, s2
	s_add_i32 s36, s37, s36
	s_mul_i32 s26, s26, s2
	s_mul_i32 s37, s27, s15
	s_mul_hi_u32 s38, s27, s14
	s_add_i32 s37, s38, s37
	s_mul_i32 s36, s36, 20
	s_mul_hi_u32 s38, s26, 20
	s_add_i32 s38, s38, s36
	s_mul_i32 s26, s26, 20
	s_mul_i32 s27, s27, s14
	s_add_u32 s26, s16, s26
	s_addc_u32 s36, s17, s38
	s_mul_i32 s37, s37, 20
	s_mul_hi_u32 s38, s27, 20
	s_add_i32 s38, s38, s37
	s_mul_i32 s27, s27, 20
	s_add_u32 s26, s26, s27
	s_addc_u32 s27, s36, s38
	s_mul_i32 s36, s34, 20
	s_mul_hi_u32 s37, s35, 20
	s_add_i32 s37, s37, s36
	s_mul_i32 s36, s35, 20
	s_add_u32 s26, s26, s36
	s_addc_u32 s27, s27, s37
	v_mad_u64_u32 v[14:15], s[26:27], v0, 20, s[26:27]
	v_mov_b32_e32 v12, v15
	v_mad_u64_u32 v[12:13], s[26:27], v1, 20, v[12:13]
	v_mov_b32_e32 v15, v12
	v_lshl_add_u64 v[16:17], v[14:15], 0, v[2:3]
	global_load_ubyte v12, v[16:17], off offset:4
	global_load_dword v13, v[14:15], off
	s_waitcnt vmcnt(1)
	v_and_b32_e32 v14, 15, v12
	v_cvt_f32_ubyte0_e32 v14, v14
	s_waitcnt vmcnt(0)
	v_fma_mix_f32 v15, v13, v14, v13 op_sel:[0,0,1] op_sel_hi:[1,0,1]
	s_nop 0
	v_and_b32_e32 v14, 0x7f800000, v15
	v_cmp_ne_u32_e32 vcc, s30, v14
                                        ; implicit-def: $vgpr14
	s_and_saveexec_b64 s[26:27], vcc
	s_xor_b64 s[26:27], exec, s[26:27]
; %bb.8:                                ;   in Loop: Header=BB49_7 Depth=2
	v_bfe_u32 v14, v15, 16, 1
	v_add3_u32 v14, v15, v14, s31
                                        ; implicit-def: $vgpr15
; %bb.9:                                ;   in Loop: Header=BB49_7 Depth=2
	s_andn2_saveexec_b64 s[26:27], s[26:27]
; %bb.10:                               ;   in Loop: Header=BB49_7 Depth=2
	v_or_b32_e32 v14, 0x10000, v15
	v_cmp_eq_u32_sdwa vcc, v15, v3 src0_sel:WORD_0 src1_sel:DWORD
	s_nop 1
	v_cndmask_b32_e32 v14, v14, v15, vcc
; %bb.11:                               ;   in Loop: Header=BB49_7 Depth=2
	s_or_b64 exec, exec, s[26:27]
	v_cvt_f32_f16_e32 v15, v13
	v_cvt_f32_f16_sdwa v13, v13 dst_sel:DWORD dst_unused:UNUSED_PAD src0_sel:WORD_1
	v_lshrrev_b32_e32 v12, 4, v12
	v_cvt_f32_ubyte0_e32 v12, v12
	global_store_short_d16_hi v[10:11], v14, off offset:-32
	v_fmac_f32_e32 v13, v15, v12
	v_and_b32_e32 v12, 0x7f800000, v13
	v_cmp_ne_u32_e32 vcc, s30, v12
                                        ; implicit-def: $vgpr12
	s_and_saveexec_b64 s[26:27], vcc
	s_xor_b64 s[26:27], exec, s[26:27]
; %bb.12:                               ;   in Loop: Header=BB49_7 Depth=2
	v_bfe_u32 v12, v13, 16, 1
	v_add3_u32 v12, v13, v12, s31
                                        ; implicit-def: $vgpr13
; %bb.13:                               ;   in Loop: Header=BB49_7 Depth=2
	s_andn2_saveexec_b64 s[26:27], s[26:27]
	s_cbranch_execz .LBB49_6
; %bb.14:                               ;   in Loop: Header=BB49_7 Depth=2
	v_or_b32_e32 v12, 0x10000, v13
	v_cmp_eq_u32_sdwa vcc, v13, v3 src0_sel:WORD_0 src1_sel:DWORD
	s_nop 1
	v_cndmask_b32_e32 v12, v12, v13, vcc
	s_branch .LBB49_6
.LBB49_15:
	s_endpgm
	.section	.rodata,"a",@progbits
	.p2align	6, 0x0
	.amdhsa_kernel _ZL16dequantize_blockILi32ELi2EXadL_ZL15dequantize_q4_1PKvliR15HIP_vector_typeIfLj2EEEE14__hip_bfloat16EvS1_PT2_lllS2_IjLj3EElll
		.amdhsa_group_segment_fixed_size 0
		.amdhsa_private_segment_fixed_size 0
		.amdhsa_kernarg_size 336
		.amdhsa_user_sgpr_count 2
		.amdhsa_user_sgpr_dispatch_ptr 0
		.amdhsa_user_sgpr_queue_ptr 0
		.amdhsa_user_sgpr_kernarg_segment_ptr 1
		.amdhsa_user_sgpr_dispatch_id 0
		.amdhsa_user_sgpr_kernarg_preload_length 0
		.amdhsa_user_sgpr_kernarg_preload_offset 0
		.amdhsa_user_sgpr_private_segment_size 0
		.amdhsa_uses_dynamic_stack 0
		.amdhsa_enable_private_segment 0
		.amdhsa_system_sgpr_workgroup_id_x 1
		.amdhsa_system_sgpr_workgroup_id_y 1
		.amdhsa_system_sgpr_workgroup_id_z 1
		.amdhsa_system_sgpr_workgroup_info 0
		.amdhsa_system_vgpr_workitem_id 0
		.amdhsa_next_free_vgpr 18
		.amdhsa_next_free_sgpr 39
		.amdhsa_accum_offset 20
		.amdhsa_reserve_vcc 1
		.amdhsa_float_round_mode_32 0
		.amdhsa_float_round_mode_16_64 0
		.amdhsa_float_denorm_mode_32 3
		.amdhsa_float_denorm_mode_16_64 3
		.amdhsa_dx10_clamp 1
		.amdhsa_ieee_mode 1
		.amdhsa_fp16_overflow 0
		.amdhsa_tg_split 0
		.amdhsa_exception_fp_ieee_invalid_op 0
		.amdhsa_exception_fp_denorm_src 0
		.amdhsa_exception_fp_ieee_div_zero 0
		.amdhsa_exception_fp_ieee_overflow 0
		.amdhsa_exception_fp_ieee_underflow 0
		.amdhsa_exception_fp_ieee_inexact 0
		.amdhsa_exception_int_div_zero 0
	.end_amdhsa_kernel
	.section	.text._ZL16dequantize_blockILi32ELi2EXadL_ZL15dequantize_q4_1PKvliR15HIP_vector_typeIfLj2EEEE14__hip_bfloat16EvS1_PT2_lllS2_IjLj3EElll,"axG",@progbits,_ZL16dequantize_blockILi32ELi2EXadL_ZL15dequantize_q4_1PKvliR15HIP_vector_typeIfLj2EEEE14__hip_bfloat16EvS1_PT2_lllS2_IjLj3EElll,comdat
.Lfunc_end49:
	.size	_ZL16dequantize_blockILi32ELi2EXadL_ZL15dequantize_q4_1PKvliR15HIP_vector_typeIfLj2EEEE14__hip_bfloat16EvS1_PT2_lllS2_IjLj3EElll, .Lfunc_end49-_ZL16dequantize_blockILi32ELi2EXadL_ZL15dequantize_q4_1PKvliR15HIP_vector_typeIfLj2EEEE14__hip_bfloat16EvS1_PT2_lllS2_IjLj3EElll
                                        ; -- End function
	.section	.AMDGPU.csdata,"",@progbits
; Kernel info:
; codeLenInByte = 860
; NumSgprs: 45
; NumVgprs: 18
; NumAgprs: 0
; TotalNumVgprs: 18
; ScratchSize: 0
; MemoryBound: 0
; FloatMode: 240
; IeeeMode: 1
; LDSByteSize: 0 bytes/workgroup (compile time only)
; SGPRBlocks: 5
; VGPRBlocks: 2
; NumSGPRsForWavesPerEU: 45
; NumVGPRsForWavesPerEU: 18
; AccumOffset: 20
; Occupancy: 8
; WaveLimiterHint : 0
; COMPUTE_PGM_RSRC2:SCRATCH_EN: 0
; COMPUTE_PGM_RSRC2:USER_SGPR: 2
; COMPUTE_PGM_RSRC2:TRAP_HANDLER: 0
; COMPUTE_PGM_RSRC2:TGID_X_EN: 1
; COMPUTE_PGM_RSRC2:TGID_Y_EN: 1
; COMPUTE_PGM_RSRC2:TGID_Z_EN: 1
; COMPUTE_PGM_RSRC2:TIDIG_COMP_CNT: 0
; COMPUTE_PGM_RSRC3_GFX90A:ACCUM_OFFSET: 4
; COMPUTE_PGM_RSRC3_GFX90A:TG_SPLIT: 0
	.section	.text._ZL16dequantize_blockILi32ELi2EXadL_ZL15dequantize_q5_0PKvliR15HIP_vector_typeIfLj2EEEE14__hip_bfloat16EvS1_PT2_lllS2_IjLj3EElll,"axG",@progbits,_ZL16dequantize_blockILi32ELi2EXadL_ZL15dequantize_q5_0PKvliR15HIP_vector_typeIfLj2EEEE14__hip_bfloat16EvS1_PT2_lllS2_IjLj3EElll,comdat
	.globl	_ZL16dequantize_blockILi32ELi2EXadL_ZL15dequantize_q5_0PKvliR15HIP_vector_typeIfLj2EEEE14__hip_bfloat16EvS1_PT2_lllS2_IjLj3EElll ; -- Begin function _ZL16dequantize_blockILi32ELi2EXadL_ZL15dequantize_q5_0PKvliR15HIP_vector_typeIfLj2EEEE14__hip_bfloat16EvS1_PT2_lllS2_IjLj3EElll
	.p2align	8
	.type	_ZL16dequantize_blockILi32ELi2EXadL_ZL15dequantize_q5_0PKvliR15HIP_vector_typeIfLj2EEEE14__hip_bfloat16EvS1_PT2_lllS2_IjLj3EElll,@function
_ZL16dequantize_blockILi32ELi2EXadL_ZL15dequantize_q5_0PKvliR15HIP_vector_typeIfLj2EEEE14__hip_bfloat16EvS1_PT2_lllS2_IjLj3EElll: ; @_ZL16dequantize_blockILi32ELi2EXadL_ZL15dequantize_q5_0PKvliR15HIP_vector_typeIfLj2EEEE14__hip_bfloat16EvS1_PT2_lllS2_IjLj3EElll
; %bb.0:
	s_mov_b32 s6, s3
	s_load_dword s3, s[0:1], 0x5c
	s_load_dwordx4 s[20:23], s[0:1], 0x10
	s_add_u32 s24, s0, 0x50
	s_addc_u32 s25, s1, 0
	v_mov_b32_e32 v1, 0
	s_waitcnt lgkmcnt(0)
	s_and_b32 s3, s3, 0xffff
	v_mov_b32_e32 v2, s2
	v_mad_u64_u32 v[2:3], s[2:3], s3, v2, v[0:1]
	v_lshlrev_b64 v[0:1], 1, v[2:3]
	v_cmp_gt_i64_e32 vcc, s[20:21], v[0:1]
	s_and_saveexec_b64 s[2:3], vcc
	s_cbranch_execz .LBB50_15
; %bb.1:
	s_load_dwordx2 s[26:27], s[0:1], 0x20
	s_mov_b32 s7, 0
	v_mov_b64_e32 v[0:1], s[22:23]
	v_cmp_ge_i64_e32 vcc, s[6:7], v[0:1]
	s_cbranch_vccnz .LBB50_15
; %bb.2:
	s_load_dwordx4 s[16:19], s[0:1], 0x0
	s_load_dwordx8 s[8:15], s[0:1], 0x28
	s_load_dwordx2 s[2:3], s[0:1], 0x48
	s_mul_i32 s0, s23, s4
	s_mul_hi_u32 s1, s22, s4
	s_add_i32 s1, s1, s0
	s_mul_i32 s0, s22, s4
	s_load_dword s28, s[24:25], 0x4
	s_add_u32 s0, s0, s6
	s_addc_u32 s1, s1, 0
	s_mul_i32 s1, s20, s1
	s_waitcnt lgkmcnt(0)
	s_mul_hi_u32 s11, s20, s0
	v_lshrrev_b64 v[0:1], 4, v[2:3]
	s_add_i32 s1, s11, s1
	s_mul_i32 s11, s21, s0
	v_and_b32_e32 v2, 15, v2
	v_mov_b32_e32 v3, 0
	s_add_i32 s1, s1, s11
	s_mul_i32 s0, s20, s0
	v_lshlrev_b64 v[4:5], 6, v[0:1]
	v_lshl_add_u64 v[4:5], s[0:1], 1, v[4:5]
	v_lshlrev_b32_e32 v8, 1, v2
	v_mov_b32_e32 v9, v3
	s_mul_i32 s0, s21, s28
	s_mul_hi_u32 s1, s20, s28
	v_lshl_add_u64 v[4:5], v[4:5], 0, v[8:9]
	s_add_i32 s1, s1, s0
	s_mul_i32 s0, s20, s28
	s_mov_b32 s5, s7
	v_mov_b64_e32 v[6:7], s[26:27]
	v_lshl_add_u64 v[4:5], v[4:5], 0, s[18:19]
	s_lshl_b64 s[18:19], s[0:1], 1
	s_mul_i32 s0, s22, s21
	s_mul_hi_u32 s1, s22, s20
	s_add_i32 s0, s1, s0
	s_mul_i32 s1, s23, s20
	v_cmp_lt_i64_e32 vcc, s[4:5], v[6:7]
	s_add_i32 s1, s0, s1
	s_mul_i32 s0, s22, s20
	v_cndmask_b32_e64 v10, 0, 1, vcc
	v_add_u32_e32 v12, 12, v2
	v_lshl_add_u64 v[4:5], v[4:5], 0, 32
	s_lshl_b64 s[20:21], s[0:1], 1
	s_sub_i32 s29, 0, s10
	s_mov_b32 s30, 0x1000706
	s_mov_b32 s31, 0x7f800000
	s_movk_i32 s33, 0x7fff
	v_mov_b64_e32 v[8:9], s[22:23]
	v_cmp_ne_u32_e64 s[0:1], 1, v10
	s_branch .LBB50_4
.LBB50_3:                               ;   in Loop: Header=BB50_4 Depth=1
	s_add_u32 s6, s6, s28
	s_addc_u32 s7, s7, 0
	v_cmp_ge_i64_e32 vcc, s[6:7], v[8:9]
	v_lshl_add_u64 v[4:5], v[4:5], 0, s[18:19]
	s_cbranch_vccnz .LBB50_15
.LBB50_4:                               ; =>This Loop Header: Depth=1
                                        ;     Child Loop BB50_7 Depth 2
	s_and_b64 vcc, exec, s[0:1]
	s_cbranch_vccnz .LBB50_3
; %bb.5:                                ;   in Loop: Header=BB50_4 Depth=1
	s_load_dword s34, s[24:25], 0x8
	s_mul_i32 s10, s6, s13
	s_mul_hi_u32 s11, s6, s12
	s_add_i32 s10, s11, s10
	s_mul_i32 s11, s7, s12
	s_add_i32 s35, s10, s11
	s_waitcnt lgkmcnt(0)
	s_mul_i32 s10, s21, s34
	s_mul_hi_u32 s11, s20, s34
	s_mul_i32 s36, s6, s12
	s_add_i32 s11, s11, s10
	s_mul_i32 s10, s20, s34
	v_mov_b64_e32 v[10:11], v[4:5]
	s_mov_b64 s[22:23], s[4:5]
	s_branch .LBB50_7
.LBB50_6:                               ;   in Loop: Header=BB50_7 Depth=2
	s_or_b64 exec, exec, s[26:27]
	s_add_u32 s22, s22, s34
	s_addc_u32 s23, s23, 0
	v_cmp_ge_i64_e32 vcc, s[22:23], v[6:7]
	global_store_short_d16_hi v[10:11], v14, off
	v_lshl_add_u64 v[10:11], v[10:11], 0, s[10:11]
	s_cbranch_vccnz .LBB50_3
.LBB50_7:                               ;   Parent Loop BB50_4 Depth=1
                                        ; =>  This Inner Loop Header: Depth=2
	s_mul_hi_u32 s26, s8, s22
	s_add_i32 s26, s22, s26
	s_lshr_b32 s26, s26, s9
	s_mul_i32 s27, s29, s26
	s_add_i32 s27, s22, s27
	s_mul_i32 s37, s26, s3
	s_mul_hi_u32 s38, s26, s2
	s_add_i32 s37, s38, s37
	s_mul_i32 s26, s26, s2
	s_mul_i32 s38, s27, s15
	s_mul_hi_u32 s39, s27, s14
	s_add_i32 s38, s39, s38
	s_mul_i32 s37, s37, 22
	s_mul_hi_u32 s39, s26, 22
	s_add_i32 s39, s39, s37
	s_mul_i32 s26, s26, 22
	s_mul_i32 s27, s27, s14
	s_add_u32 s26, s16, s26
	s_addc_u32 s37, s17, s39
	s_mul_i32 s38, s38, 22
	s_mul_hi_u32 s39, s27, 22
	s_add_i32 s39, s39, s38
	s_mul_i32 s27, s27, 22
	s_add_u32 s26, s26, s27
	s_addc_u32 s27, s37, s39
	s_mul_i32 s37, s35, 22
	s_mul_hi_u32 s38, s36, 22
	s_add_i32 s38, s38, s37
	s_mul_i32 s37, s36, 22
	s_add_u32 s26, s26, s37
	s_addc_u32 s27, s27, s38
	v_mad_u64_u32 v[14:15], s[26:27], v0, 22, s[26:27]
	v_mov_b32_e32 v16, v15
	v_mad_u64_u32 v[16:17], s[26:27], v1, 22, v[16:17]
	v_mov_b32_e32 v15, v16
	global_load_dword v16, v[14:15], off
	global_load_ushort v17, v[14:15], off offset:4
	v_lshl_add_u64 v[14:15], v[14:15], 0, v[2:3]
	global_load_ubyte v14, v[14:15], off offset:6
	s_waitcnt vmcnt(2)
	v_cvt_f32_f16_e32 v13, v16
	s_waitcnt vmcnt(1)
	v_perm_b32 v15, v16, v17, s30
	v_lshrrev_b32_e32 v16, v2, v15
	v_lshlrev_b32_e32 v16, 4, v16
	v_and_b32_e32 v16, 16, v16
	s_waitcnt vmcnt(0)
	v_or_b32_e32 v17, -16, v14
	v_add_u32_e32 v16, v17, v16
	v_cvt_f32_i32_e32 v16, v16
	v_mul_f32_e32 v17, v13, v16
	v_and_b32_e32 v16, 0x7f800000, v17
	v_cmp_ne_u32_e32 vcc, s31, v16
                                        ; implicit-def: $vgpr16
	s_and_saveexec_b64 s[26:27], vcc
	s_xor_b64 s[26:27], exec, s[26:27]
; %bb.8:                                ;   in Loop: Header=BB50_7 Depth=2
	v_bfe_u32 v16, v17, 16, 1
	v_add3_u32 v16, v17, v16, s33
                                        ; implicit-def: $vgpr17
; %bb.9:                                ;   in Loop: Header=BB50_7 Depth=2
	s_andn2_saveexec_b64 s[26:27], s[26:27]
; %bb.10:                               ;   in Loop: Header=BB50_7 Depth=2
	v_or_b32_e32 v16, 0x10000, v17
	v_cmp_eq_u32_sdwa vcc, v17, v3 src0_sel:WORD_0 src1_sel:DWORD
	s_nop 1
	v_cndmask_b32_e32 v16, v16, v17, vcc
; %bb.11:                               ;   in Loop: Header=BB50_7 Depth=2
	s_or_b64 exec, exec, s[26:27]
	v_lshrrev_b32_e32 v15, v12, v15
	v_lshrrev_b16_e32 v14, 4, v14
	v_and_b32_e32 v15, 16, v15
	v_or_b32_e32 v14, -16, v14
	v_add_u32_sdwa v14, v15, sext(v14) dst_sel:DWORD dst_unused:UNUSED_PAD src0_sel:DWORD src1_sel:WORD_0
	v_cvt_f32_i32_e32 v14, v14
	global_store_short_d16_hi v[10:11], v16, off offset:-32
	v_mul_f32_e32 v13, v13, v14
	v_and_b32_e32 v14, 0x7f800000, v13
	v_cmp_ne_u32_e32 vcc, s31, v14
                                        ; implicit-def: $vgpr14
	s_and_saveexec_b64 s[26:27], vcc
	s_xor_b64 s[26:27], exec, s[26:27]
; %bb.12:                               ;   in Loop: Header=BB50_7 Depth=2
	v_bfe_u32 v14, v13, 16, 1
	v_add3_u32 v14, v13, v14, s33
                                        ; implicit-def: $vgpr13
; %bb.13:                               ;   in Loop: Header=BB50_7 Depth=2
	s_andn2_saveexec_b64 s[26:27], s[26:27]
	s_cbranch_execz .LBB50_6
; %bb.14:                               ;   in Loop: Header=BB50_7 Depth=2
	v_or_b32_e32 v14, 0x10000, v13
	v_cmp_eq_u32_sdwa vcc, v13, v3 src0_sel:WORD_0 src1_sel:DWORD
	s_nop 1
	v_cndmask_b32_e32 v14, v14, v13, vcc
	s_branch .LBB50_6
.LBB50_15:
	s_endpgm
	.section	.rodata,"a",@progbits
	.p2align	6, 0x0
	.amdhsa_kernel _ZL16dequantize_blockILi32ELi2EXadL_ZL15dequantize_q5_0PKvliR15HIP_vector_typeIfLj2EEEE14__hip_bfloat16EvS1_PT2_lllS2_IjLj3EElll
		.amdhsa_group_segment_fixed_size 0
		.amdhsa_private_segment_fixed_size 0
		.amdhsa_kernarg_size 336
		.amdhsa_user_sgpr_count 2
		.amdhsa_user_sgpr_dispatch_ptr 0
		.amdhsa_user_sgpr_queue_ptr 0
		.amdhsa_user_sgpr_kernarg_segment_ptr 1
		.amdhsa_user_sgpr_dispatch_id 0
		.amdhsa_user_sgpr_kernarg_preload_length 0
		.amdhsa_user_sgpr_kernarg_preload_offset 0
		.amdhsa_user_sgpr_private_segment_size 0
		.amdhsa_uses_dynamic_stack 0
		.amdhsa_enable_private_segment 0
		.amdhsa_system_sgpr_workgroup_id_x 1
		.amdhsa_system_sgpr_workgroup_id_y 1
		.amdhsa_system_sgpr_workgroup_id_z 1
		.amdhsa_system_sgpr_workgroup_info 0
		.amdhsa_system_vgpr_workitem_id 0
		.amdhsa_next_free_vgpr 18
		.amdhsa_next_free_sgpr 40
		.amdhsa_accum_offset 20
		.amdhsa_reserve_vcc 1
		.amdhsa_float_round_mode_32 0
		.amdhsa_float_round_mode_16_64 0
		.amdhsa_float_denorm_mode_32 3
		.amdhsa_float_denorm_mode_16_64 3
		.amdhsa_dx10_clamp 1
		.amdhsa_ieee_mode 1
		.amdhsa_fp16_overflow 0
		.amdhsa_tg_split 0
		.amdhsa_exception_fp_ieee_invalid_op 0
		.amdhsa_exception_fp_denorm_src 0
		.amdhsa_exception_fp_ieee_div_zero 0
		.amdhsa_exception_fp_ieee_overflow 0
		.amdhsa_exception_fp_ieee_underflow 0
		.amdhsa_exception_fp_ieee_inexact 0
		.amdhsa_exception_int_div_zero 0
	.end_amdhsa_kernel
	.section	.text._ZL16dequantize_blockILi32ELi2EXadL_ZL15dequantize_q5_0PKvliR15HIP_vector_typeIfLj2EEEE14__hip_bfloat16EvS1_PT2_lllS2_IjLj3EElll,"axG",@progbits,_ZL16dequantize_blockILi32ELi2EXadL_ZL15dequantize_q5_0PKvliR15HIP_vector_typeIfLj2EEEE14__hip_bfloat16EvS1_PT2_lllS2_IjLj3EElll,comdat
.Lfunc_end50:
	.size	_ZL16dequantize_blockILi32ELi2EXadL_ZL15dequantize_q5_0PKvliR15HIP_vector_typeIfLj2EEEE14__hip_bfloat16EvS1_PT2_lllS2_IjLj3EElll, .Lfunc_end50-_ZL16dequantize_blockILi32ELi2EXadL_ZL15dequantize_q5_0PKvliR15HIP_vector_typeIfLj2EEEE14__hip_bfloat16EvS1_PT2_lllS2_IjLj3EElll
                                        ; -- End function
	.section	.AMDGPU.csdata,"",@progbits
; Kernel info:
; codeLenInByte = 912
; NumSgprs: 46
; NumVgprs: 18
; NumAgprs: 0
; TotalNumVgprs: 18
; ScratchSize: 0
; MemoryBound: 0
; FloatMode: 240
; IeeeMode: 1
; LDSByteSize: 0 bytes/workgroup (compile time only)
; SGPRBlocks: 5
; VGPRBlocks: 2
; NumSGPRsForWavesPerEU: 46
; NumVGPRsForWavesPerEU: 18
; AccumOffset: 20
; Occupancy: 8
; WaveLimiterHint : 0
; COMPUTE_PGM_RSRC2:SCRATCH_EN: 0
; COMPUTE_PGM_RSRC2:USER_SGPR: 2
; COMPUTE_PGM_RSRC2:TRAP_HANDLER: 0
; COMPUTE_PGM_RSRC2:TGID_X_EN: 1
; COMPUTE_PGM_RSRC2:TGID_Y_EN: 1
; COMPUTE_PGM_RSRC2:TGID_Z_EN: 1
; COMPUTE_PGM_RSRC2:TIDIG_COMP_CNT: 0
; COMPUTE_PGM_RSRC3_GFX90A:ACCUM_OFFSET: 4
; COMPUTE_PGM_RSRC3_GFX90A:TG_SPLIT: 0
	.section	.text._ZL16dequantize_blockILi32ELi2EXadL_ZL15dequantize_q5_1PKvliR15HIP_vector_typeIfLj2EEEE14__hip_bfloat16EvS1_PT2_lllS2_IjLj3EElll,"axG",@progbits,_ZL16dequantize_blockILi32ELi2EXadL_ZL15dequantize_q5_1PKvliR15HIP_vector_typeIfLj2EEEE14__hip_bfloat16EvS1_PT2_lllS2_IjLj3EElll,comdat
	.globl	_ZL16dequantize_blockILi32ELi2EXadL_ZL15dequantize_q5_1PKvliR15HIP_vector_typeIfLj2EEEE14__hip_bfloat16EvS1_PT2_lllS2_IjLj3EElll ; -- Begin function _ZL16dequantize_blockILi32ELi2EXadL_ZL15dequantize_q5_1PKvliR15HIP_vector_typeIfLj2EEEE14__hip_bfloat16EvS1_PT2_lllS2_IjLj3EElll
	.p2align	8
	.type	_ZL16dequantize_blockILi32ELi2EXadL_ZL15dequantize_q5_1PKvliR15HIP_vector_typeIfLj2EEEE14__hip_bfloat16EvS1_PT2_lllS2_IjLj3EElll,@function
_ZL16dequantize_blockILi32ELi2EXadL_ZL15dequantize_q5_1PKvliR15HIP_vector_typeIfLj2EEEE14__hip_bfloat16EvS1_PT2_lllS2_IjLj3EElll: ; @_ZL16dequantize_blockILi32ELi2EXadL_ZL15dequantize_q5_1PKvliR15HIP_vector_typeIfLj2EEEE14__hip_bfloat16EvS1_PT2_lllS2_IjLj3EElll
; %bb.0:
	s_mov_b32 s6, s3
	s_load_dword s3, s[0:1], 0x5c
	s_load_dwordx4 s[20:23], s[0:1], 0x10
	s_add_u32 s24, s0, 0x50
	s_addc_u32 s25, s1, 0
	v_mov_b32_e32 v1, 0
	s_waitcnt lgkmcnt(0)
	s_and_b32 s3, s3, 0xffff
	v_mov_b32_e32 v2, s2
	v_mad_u64_u32 v[2:3], s[2:3], s3, v2, v[0:1]
	v_lshlrev_b64 v[0:1], 1, v[2:3]
	v_cmp_gt_i64_e32 vcc, s[20:21], v[0:1]
	s_and_saveexec_b64 s[2:3], vcc
	s_cbranch_execz .LBB51_15
; %bb.1:
	s_load_dwordx2 s[26:27], s[0:1], 0x20
	s_mov_b32 s7, 0
	v_mov_b64_e32 v[0:1], s[22:23]
	v_cmp_ge_i64_e32 vcc, s[6:7], v[0:1]
	s_cbranch_vccnz .LBB51_15
; %bb.2:
	s_load_dwordx4 s[16:19], s[0:1], 0x0
	s_load_dwordx8 s[8:15], s[0:1], 0x28
	s_load_dwordx2 s[2:3], s[0:1], 0x48
	s_mul_i32 s0, s23, s4
	s_mul_hi_u32 s1, s22, s4
	s_add_i32 s1, s1, s0
	s_mul_i32 s0, s22, s4
	s_load_dword s28, s[24:25], 0x4
	s_add_u32 s0, s0, s6
	s_addc_u32 s1, s1, 0
	s_mul_i32 s1, s20, s1
	s_waitcnt lgkmcnt(0)
	s_mul_hi_u32 s11, s20, s0
	v_lshrrev_b64 v[0:1], 4, v[2:3]
	s_add_i32 s1, s11, s1
	s_mul_i32 s11, s21, s0
	v_and_b32_e32 v2, 15, v2
	v_mov_b32_e32 v3, 0
	s_add_i32 s1, s1, s11
	s_mul_i32 s0, s20, s0
	v_lshlrev_b64 v[4:5], 6, v[0:1]
	v_lshl_add_u64 v[4:5], s[0:1], 1, v[4:5]
	v_lshlrev_b32_e32 v8, 1, v2
	v_mov_b32_e32 v9, v3
	s_mul_i32 s0, s21, s28
	s_mul_hi_u32 s1, s20, s28
	v_lshl_add_u64 v[4:5], v[4:5], 0, v[8:9]
	s_add_i32 s1, s1, s0
	s_mul_i32 s0, s20, s28
	s_mov_b32 s5, s7
	v_mov_b64_e32 v[6:7], s[26:27]
	v_lshl_add_u64 v[4:5], v[4:5], 0, s[18:19]
	s_lshl_b64 s[18:19], s[0:1], 1
	s_mul_i32 s0, s22, s21
	s_mul_hi_u32 s1, s22, s20
	s_add_i32 s0, s1, s0
	s_mul_i32 s1, s23, s20
	v_cmp_lt_i64_e32 vcc, s[4:5], v[6:7]
	s_add_i32 s1, s0, s1
	s_mul_i32 s0, s22, s20
	v_cndmask_b32_e64 v10, 0, 1, vcc
	v_add_u32_e32 v12, 12, v2
	v_lshl_add_u64 v[4:5], v[4:5], 0, 32
	s_lshl_b64 s[20:21], s[0:1], 1
	s_sub_i32 s29, 0, s10
	s_mov_b32 s30, 0x7f800000
	s_movk_i32 s31, 0x7fff
	v_mov_b64_e32 v[8:9], s[22:23]
	v_cmp_ne_u32_e64 s[0:1], 1, v10
	s_branch .LBB51_4
.LBB51_3:                               ;   in Loop: Header=BB51_4 Depth=1
	s_add_u32 s6, s6, s28
	s_addc_u32 s7, s7, 0
	v_cmp_ge_i64_e32 vcc, s[6:7], v[8:9]
	v_lshl_add_u64 v[4:5], v[4:5], 0, s[18:19]
	s_cbranch_vccnz .LBB51_15
.LBB51_4:                               ; =>This Loop Header: Depth=1
                                        ;     Child Loop BB51_7 Depth 2
	s_and_b64 vcc, exec, s[0:1]
	s_cbranch_vccnz .LBB51_3
; %bb.5:                                ;   in Loop: Header=BB51_4 Depth=1
	s_load_dword s33, s[24:25], 0x8
	s_mul_i32 s10, s6, s13
	s_mul_hi_u32 s11, s6, s12
	s_add_i32 s10, s11, s10
	s_mul_i32 s11, s7, s12
	s_add_i32 s34, s10, s11
	s_waitcnt lgkmcnt(0)
	s_mul_i32 s10, s21, s33
	s_mul_hi_u32 s11, s20, s33
	s_mul_i32 s35, s6, s12
	s_add_i32 s11, s11, s10
	s_mul_i32 s10, s20, s33
	v_mov_b64_e32 v[10:11], v[4:5]
	s_mov_b64 s[22:23], s[4:5]
	s_branch .LBB51_7
.LBB51_6:                               ;   in Loop: Header=BB51_7 Depth=2
	s_or_b64 exec, exec, s[26:27]
	s_add_u32 s22, s22, s33
	s_addc_u32 s23, s23, 0
	v_cmp_ge_i64_e32 vcc, s[22:23], v[6:7]
	global_store_short_d16_hi v[10:11], v13, off
	v_lshl_add_u64 v[10:11], v[10:11], 0, s[10:11]
	s_cbranch_vccnz .LBB51_3
.LBB51_7:                               ;   Parent Loop BB51_4 Depth=1
                                        ; =>  This Inner Loop Header: Depth=2
	s_mul_hi_u32 s26, s8, s22
	s_add_i32 s26, s22, s26
	s_lshr_b32 s26, s26, s9
	s_mul_i32 s27, s29, s26
	s_add_i32 s27, s22, s27
	s_mul_i32 s36, s26, s3
	s_mul_hi_u32 s37, s26, s2
	s_add_i32 s36, s37, s36
	s_mul_i32 s26, s26, s2
	s_mul_i32 s37, s27, s15
	s_mul_hi_u32 s38, s27, s14
	s_add_i32 s37, s38, s37
	s_mul_i32 s36, s36, 24
	s_mul_hi_u32 s38, s26, 24
	s_add_i32 s38, s38, s36
	s_mul_i32 s26, s26, 24
	s_mul_i32 s27, s27, s14
	s_add_u32 s26, s16, s26
	s_addc_u32 s36, s17, s38
	s_mul_i32 s37, s37, 24
	s_mul_hi_u32 s38, s27, 24
	s_add_i32 s38, s38, s37
	s_mul_i32 s27, s27, 24
	s_add_u32 s26, s26, s27
	s_addc_u32 s27, s36, s38
	s_mul_i32 s36, s34, 24
	s_mul_hi_u32 s37, s35, 24
	s_add_i32 s37, s37, s36
	s_mul_i32 s36, s35, 24
	s_add_u32 s26, s26, s36
	s_addc_u32 s27, s27, s37
	v_mad_u64_u32 v[16:17], s[26:27], v0, 24, s[26:27]
	v_mov_b32_e32 v14, v17
	v_mad_u64_u32 v[14:15], s[26:27], v1, 24, v[14:15]
	v_mov_b32_e32 v17, v14
	global_load_ushort v15, v[16:17], off offset:6
	global_load_ushort v20, v[16:17], off offset:4
	v_lshl_add_u64 v[18:19], v[16:17], 0, v[2:3]
	global_load_ubyte v13, v[18:19], off offset:8
	global_load_dword v14, v[16:17], off
	s_waitcnt vmcnt(3)
	v_lshrrev_b16_e32 v16, 8, v15
	v_and_b32_e32 v15, 0xff, v15
	v_lshlrev_b32_e32 v16, 24, v16
	v_lshlrev_b32_e32 v15, 16, v15
	s_waitcnt vmcnt(2)
	v_or3_b32 v15, v15, v20, v16
	v_lshrrev_b32_e32 v16, v2, v15
	v_lshlrev_b32_e32 v16, 4, v16
	s_waitcnt vmcnt(1)
	v_and_b32_e32 v17, 15, v13
	v_and_or_b32 v16, v16, 16, v17
	v_cvt_f32_ubyte0_e32 v16, v16
	s_waitcnt vmcnt(0)
	v_fma_mix_f32 v17, v14, v16, v14 op_sel:[0,0,1] op_sel_hi:[1,0,1]
	s_nop 0
	v_and_b32_e32 v16, 0x7f800000, v17
	v_cmp_ne_u32_e32 vcc, s30, v16
                                        ; implicit-def: $vgpr16
	s_and_saveexec_b64 s[26:27], vcc
	s_xor_b64 s[26:27], exec, s[26:27]
; %bb.8:                                ;   in Loop: Header=BB51_7 Depth=2
	v_bfe_u32 v16, v17, 16, 1
	v_add3_u32 v16, v17, v16, s31
                                        ; implicit-def: $vgpr17
; %bb.9:                                ;   in Loop: Header=BB51_7 Depth=2
	s_andn2_saveexec_b64 s[26:27], s[26:27]
; %bb.10:                               ;   in Loop: Header=BB51_7 Depth=2
	v_or_b32_e32 v16, 0x10000, v17
	v_cmp_eq_u32_sdwa vcc, v17, v3 src0_sel:WORD_0 src1_sel:DWORD
	s_nop 1
	v_cndmask_b32_e32 v16, v16, v17, vcc
; %bb.11:                               ;   in Loop: Header=BB51_7 Depth=2
	s_or_b64 exec, exec, s[26:27]
	v_cvt_f32_f16_e32 v17, v14
	v_cvt_f32_f16_sdwa v14, v14 dst_sel:DWORD dst_unused:UNUSED_PAD src0_sel:WORD_1
	v_lshrrev_b32_e32 v15, v12, v15
	v_lshrrev_b16_e32 v13, 4, v13
	v_and_or_b32 v13, v15, 16, v13
	v_cvt_f32_ubyte0_e32 v13, v13
	v_fmac_f32_e32 v14, v17, v13
	v_and_b32_e32 v13, 0x7f800000, v14
	v_cmp_ne_u32_e32 vcc, s30, v13
	global_store_short_d16_hi v[10:11], v16, off offset:-32
                                        ; implicit-def: $vgpr13
	s_and_saveexec_b64 s[26:27], vcc
	s_xor_b64 s[26:27], exec, s[26:27]
; %bb.12:                               ;   in Loop: Header=BB51_7 Depth=2
	v_bfe_u32 v13, v14, 16, 1
	v_add3_u32 v13, v14, v13, s31
                                        ; implicit-def: $vgpr14
; %bb.13:                               ;   in Loop: Header=BB51_7 Depth=2
	s_andn2_saveexec_b64 s[26:27], s[26:27]
	s_cbranch_execz .LBB51_6
; %bb.14:                               ;   in Loop: Header=BB51_7 Depth=2
	v_or_b32_e32 v13, 0x10000, v14
	v_cmp_eq_u32_sdwa vcc, v14, v3 src0_sel:WORD_0 src1_sel:DWORD
	s_nop 1
	v_cndmask_b32_e32 v13, v13, v14, vcc
	s_branch .LBB51_6
.LBB51_15:
	s_endpgm
	.section	.rodata,"a",@progbits
	.p2align	6, 0x0
	.amdhsa_kernel _ZL16dequantize_blockILi32ELi2EXadL_ZL15dequantize_q5_1PKvliR15HIP_vector_typeIfLj2EEEE14__hip_bfloat16EvS1_PT2_lllS2_IjLj3EElll
		.amdhsa_group_segment_fixed_size 0
		.amdhsa_private_segment_fixed_size 0
		.amdhsa_kernarg_size 336
		.amdhsa_user_sgpr_count 2
		.amdhsa_user_sgpr_dispatch_ptr 0
		.amdhsa_user_sgpr_queue_ptr 0
		.amdhsa_user_sgpr_kernarg_segment_ptr 1
		.amdhsa_user_sgpr_dispatch_id 0
		.amdhsa_user_sgpr_kernarg_preload_length 0
		.amdhsa_user_sgpr_kernarg_preload_offset 0
		.amdhsa_user_sgpr_private_segment_size 0
		.amdhsa_uses_dynamic_stack 0
		.amdhsa_enable_private_segment 0
		.amdhsa_system_sgpr_workgroup_id_x 1
		.amdhsa_system_sgpr_workgroup_id_y 1
		.amdhsa_system_sgpr_workgroup_id_z 1
		.amdhsa_system_sgpr_workgroup_info 0
		.amdhsa_system_vgpr_workitem_id 0
		.amdhsa_next_free_vgpr 21
		.amdhsa_next_free_sgpr 39
		.amdhsa_accum_offset 24
		.amdhsa_reserve_vcc 1
		.amdhsa_float_round_mode_32 0
		.amdhsa_float_round_mode_16_64 0
		.amdhsa_float_denorm_mode_32 3
		.amdhsa_float_denorm_mode_16_64 3
		.amdhsa_dx10_clamp 1
		.amdhsa_ieee_mode 1
		.amdhsa_fp16_overflow 0
		.amdhsa_tg_split 0
		.amdhsa_exception_fp_ieee_invalid_op 0
		.amdhsa_exception_fp_denorm_src 0
		.amdhsa_exception_fp_ieee_div_zero 0
		.amdhsa_exception_fp_ieee_overflow 0
		.amdhsa_exception_fp_ieee_underflow 0
		.amdhsa_exception_fp_ieee_inexact 0
		.amdhsa_exception_int_div_zero 0
	.end_amdhsa_kernel
	.section	.text._ZL16dequantize_blockILi32ELi2EXadL_ZL15dequantize_q5_1PKvliR15HIP_vector_typeIfLj2EEEE14__hip_bfloat16EvS1_PT2_lllS2_IjLj3EElll,"axG",@progbits,_ZL16dequantize_blockILi32ELi2EXadL_ZL15dequantize_q5_1PKvliR15HIP_vector_typeIfLj2EEEE14__hip_bfloat16EvS1_PT2_lllS2_IjLj3EElll,comdat
.Lfunc_end51:
	.size	_ZL16dequantize_blockILi32ELi2EXadL_ZL15dequantize_q5_1PKvliR15HIP_vector_typeIfLj2EEEE14__hip_bfloat16EvS1_PT2_lllS2_IjLj3EElll, .Lfunc_end51-_ZL16dequantize_blockILi32ELi2EXadL_ZL15dequantize_q5_1PKvliR15HIP_vector_typeIfLj2EEEE14__hip_bfloat16EvS1_PT2_lllS2_IjLj3EElll
                                        ; -- End function
	.section	.AMDGPU.csdata,"",@progbits
; Kernel info:
; codeLenInByte = 944
; NumSgprs: 45
; NumVgprs: 21
; NumAgprs: 0
; TotalNumVgprs: 21
; ScratchSize: 0
; MemoryBound: 0
; FloatMode: 240
; IeeeMode: 1
; LDSByteSize: 0 bytes/workgroup (compile time only)
; SGPRBlocks: 5
; VGPRBlocks: 2
; NumSGPRsForWavesPerEU: 45
; NumVGPRsForWavesPerEU: 21
; AccumOffset: 24
; Occupancy: 8
; WaveLimiterHint : 0
; COMPUTE_PGM_RSRC2:SCRATCH_EN: 0
; COMPUTE_PGM_RSRC2:USER_SGPR: 2
; COMPUTE_PGM_RSRC2:TRAP_HANDLER: 0
; COMPUTE_PGM_RSRC2:TGID_X_EN: 1
; COMPUTE_PGM_RSRC2:TGID_Y_EN: 1
; COMPUTE_PGM_RSRC2:TGID_Z_EN: 1
; COMPUTE_PGM_RSRC2:TIDIG_COMP_CNT: 0
; COMPUTE_PGM_RSRC3_GFX90A:ACCUM_OFFSET: 5
; COMPUTE_PGM_RSRC3_GFX90A:TG_SPLIT: 0
	.section	.text._ZL16dequantize_blockILi32ELi1EXadL_ZL15dequantize_q8_0PKvliR15HIP_vector_typeIfLj2EEEE14__hip_bfloat16EvS1_PT2_lllS2_IjLj3EElll,"axG",@progbits,_ZL16dequantize_blockILi32ELi1EXadL_ZL15dequantize_q8_0PKvliR15HIP_vector_typeIfLj2EEEE14__hip_bfloat16EvS1_PT2_lllS2_IjLj3EElll,comdat
	.globl	_ZL16dequantize_blockILi32ELi1EXadL_ZL15dequantize_q8_0PKvliR15HIP_vector_typeIfLj2EEEE14__hip_bfloat16EvS1_PT2_lllS2_IjLj3EElll ; -- Begin function _ZL16dequantize_blockILi32ELi1EXadL_ZL15dequantize_q8_0PKvliR15HIP_vector_typeIfLj2EEEE14__hip_bfloat16EvS1_PT2_lllS2_IjLj3EElll
	.p2align	8
	.type	_ZL16dequantize_blockILi32ELi1EXadL_ZL15dequantize_q8_0PKvliR15HIP_vector_typeIfLj2EEEE14__hip_bfloat16EvS1_PT2_lllS2_IjLj3EElll,@function
_ZL16dequantize_blockILi32ELi1EXadL_ZL15dequantize_q8_0PKvliR15HIP_vector_typeIfLj2EEEE14__hip_bfloat16EvS1_PT2_lllS2_IjLj3EElll: ; @_ZL16dequantize_blockILi32ELi1EXadL_ZL15dequantize_q8_0PKvliR15HIP_vector_typeIfLj2EEEE14__hip_bfloat16EvS1_PT2_lllS2_IjLj3EElll
; %bb.0:
	s_mov_b32 s6, s3
	s_load_dword s3, s[0:1], 0x5c
	s_load_dwordx4 s[20:23], s[0:1], 0x10
	s_add_u32 s24, s0, 0x50
	s_addc_u32 s25, s1, 0
	v_mov_b32_e32 v1, 0
	s_waitcnt lgkmcnt(0)
	s_and_b32 s5, s3, 0xffff
	v_mov_b32_e32 v2, s2
	v_mad_u64_u32 v[2:3], s[8:9], s5, v2, v[0:1]
	v_lshlrev_b64 v[4:5], 1, v[2:3]
	v_cmp_gt_i64_e32 vcc, s[20:21], v[4:5]
	s_and_saveexec_b64 s[8:9], vcc
	s_cbranch_execz .LBB52_15
; %bb.1:
	s_load_dwordx2 s[28:29], s[0:1], 0x20
	s_mov_b32 s7, 0
	v_mov_b64_e32 v[6:7], s[22:23]
	v_cmp_ge_i64_e32 vcc, s[6:7], v[6:7]
	s_cbranch_vccnz .LBB52_15
; %bb.2:
	s_load_dwordx4 s[16:19], s[0:1], 0x0
	s_load_dwordx8 s[8:15], s[0:1], 0x28
	s_load_dwordx2 s[26:27], s[0:1], 0x48
	s_mul_i32 s0, s23, s4
	s_mul_hi_u32 s1, s22, s4
	s_add_i32 s1, s1, s0
	s_mul_i32 s0, s22, s4
	s_load_dword s30, s[24:25], 0x4
	s_add_u32 s0, s0, s6
	s_addc_u32 s1, s1, 0
	s_mul_i32 s1, s20, s1
	s_waitcnt lgkmcnt(0)
	s_mul_hi_u32 s11, s20, s0
	v_lshrrev_b64 v[2:3], 4, v[2:3]
	s_add_i32 s1, s11, s1
	s_mul_i32 s11, s21, s0
	s_add_i32 s1, s1, s11
	s_mul_i32 s0, s20, s0
	v_lshlrev_b64 v[8:9], 6, v[2:3]
	v_mov_b32_e32 v1, s3
	v_lshl_add_u64 v[8:9], s[0:1], 1, v[8:9]
	v_mad_legacy_u16 v0, s2, v1, v0
	s_mul_i32 s0, s21, s30
	s_mul_hi_u32 s1, s20, s30
	v_mov_b32_e32 v5, 0
	v_and_b32_e32 v0, 15, v0
	s_add_i32 s1, s1, s0
	s_mul_i32 s0, s20, s30
	s_mov_b32 s5, s7
	v_mov_b64_e32 v[6:7], s[28:29]
	v_lshlrev_b32_e32 v0, 2, v0
	v_mov_b32_e32 v1, v5
	s_lshl_b64 s[2:3], s[0:1], 1
	s_mul_i32 s0, s22, s21
	s_mul_hi_u32 s1, s22, s20
	v_lshl_add_u64 v[0:1], v[8:9], 0, v[0:1]
	s_add_i32 s0, s1, s0
	s_mul_i32 s1, s23, s20
	v_cmp_lt_i64_e32 vcc, s[4:5], v[6:7]
	v_lshl_add_u64 v[0:1], v[0:1], 0, s[18:19]
	s_add_i32 s1, s0, s1
	s_mul_i32 s0, s22, s20
	v_cndmask_b32_e64 v10, 0, 1, vcc
	v_and_b32_e32 v4, 30, v4
	v_lshl_add_u64 v[0:1], v[0:1], 0, 2
	s_lshl_b64 s[18:19], s[0:1], 1
	s_sub_i32 s31, 0, s10
	s_mov_b32 s33, 0x7f800000
	s_movk_i32 s34, 0x7fff
	v_mov_b64_e32 v[8:9], s[22:23]
	v_cmp_ne_u32_e64 s[0:1], 1, v10
	s_branch .LBB52_4
.LBB52_3:                               ;   in Loop: Header=BB52_4 Depth=1
	s_add_u32 s6, s6, s30
	s_addc_u32 s7, s7, 0
	v_cmp_ge_i64_e32 vcc, s[6:7], v[8:9]
	v_lshl_add_u64 v[0:1], v[0:1], 0, s[2:3]
	s_cbranch_vccnz .LBB52_15
.LBB52_4:                               ; =>This Loop Header: Depth=1
                                        ;     Child Loop BB52_7 Depth 2
	s_and_b64 vcc, exec, s[0:1]
	s_cbranch_vccnz .LBB52_3
; %bb.5:                                ;   in Loop: Header=BB52_4 Depth=1
	s_load_dword s28, s[24:25], 0x8
	s_mul_i32 s10, s6, s13
	s_mul_hi_u32 s11, s6, s12
	s_add_i32 s10, s11, s10
	s_mul_i32 s11, s7, s12
	s_add_i32 s29, s10, s11
	s_waitcnt lgkmcnt(0)
	s_mul_i32 s10, s19, s28
	s_mul_hi_u32 s11, s18, s28
	s_mul_i32 s35, s6, s12
	s_add_i32 s11, s11, s10
	s_mul_i32 s10, s18, s28
	v_mov_b64_e32 v[10:11], v[0:1]
	s_mov_b64 s[20:21], s[4:5]
	s_branch .LBB52_7
.LBB52_6:                               ;   in Loop: Header=BB52_7 Depth=2
	s_or_b64 exec, exec, s[22:23]
	s_add_u32 s20, s20, s28
	s_addc_u32 s21, s21, 0
	v_cmp_ge_i64_e32 vcc, s[20:21], v[6:7]
	global_store_short_d16_hi v[10:11], v13, off
	v_lshl_add_u64 v[10:11], v[10:11], 0, s[10:11]
	s_cbranch_vccnz .LBB52_3
.LBB52_7:                               ;   Parent Loop BB52_4 Depth=1
                                        ; =>  This Inner Loop Header: Depth=2
	s_mul_hi_u32 s22, s8, s20
	s_add_i32 s22, s20, s22
	s_lshr_b32 s22, s22, s9
	s_mul_i32 s23, s31, s22
	s_add_i32 s23, s20, s23
	s_mul_i32 s36, s22, s27
	s_mul_hi_u32 s37, s22, s26
	s_add_i32 s36, s37, s36
	s_mul_i32 s22, s22, s26
	s_mul_i32 s37, s23, s15
	s_mul_hi_u32 s38, s23, s14
	s_add_i32 s37, s38, s37
	s_mul_i32 s36, s36, 34
	s_mul_hi_u32 s38, s22, 34
	s_add_i32 s38, s38, s36
	s_mul_i32 s22, s22, 34
	s_mul_i32 s23, s23, s14
	s_add_u32 s22, s16, s22
	s_addc_u32 s36, s17, s38
	s_mul_i32 s37, s37, 34
	s_mul_hi_u32 s38, s23, 34
	s_add_i32 s38, s38, s37
	s_mul_i32 s23, s23, 34
	s_add_u32 s22, s22, s23
	s_addc_u32 s23, s36, s38
	s_mul_i32 s36, s29, 34
	s_mul_hi_u32 s37, s35, 34
	s_add_i32 s37, s37, s36
	s_mul_i32 s36, s35, 34
	s_add_u32 s22, s22, s36
	s_addc_u32 s23, s23, s37
	v_mad_u64_u32 v[12:13], s[22:23], v2, 34, s[22:23]
	v_mov_b32_e32 v14, v13
	v_mad_u64_u32 v[14:15], s[22:23], v3, 34, v[14:15]
	v_mov_b32_e32 v13, v14
	global_load_ushort v16, v[12:13], off
	v_lshl_add_u64 v[14:15], v[12:13], 0, v[4:5]
	global_load_sbyte v17, v[14:15], off offset:2
	global_load_ubyte v13, v[14:15], off offset:3
	s_waitcnt vmcnt(2)
	v_cvt_f32_f16_e32 v12, v16
	s_waitcnt vmcnt(1)
	v_cvt_f32_i32_e32 v14, v17
	v_mul_f32_e32 v15, v12, v14
	v_and_b32_e32 v14, 0x7f800000, v15
	v_cmp_ne_u32_e32 vcc, s33, v14
                                        ; implicit-def: $vgpr14
	s_and_saveexec_b64 s[22:23], vcc
	s_xor_b64 s[22:23], exec, s[22:23]
; %bb.8:                                ;   in Loop: Header=BB52_7 Depth=2
	v_bfe_u32 v14, v15, 16, 1
	v_add3_u32 v14, v15, v14, s34
                                        ; implicit-def: $vgpr15
; %bb.9:                                ;   in Loop: Header=BB52_7 Depth=2
	s_andn2_saveexec_b64 s[22:23], s[22:23]
; %bb.10:                               ;   in Loop: Header=BB52_7 Depth=2
	v_or_b32_e32 v14, 0x10000, v15
	v_cmp_eq_u32_sdwa vcc, v15, v5 src0_sel:WORD_0 src1_sel:DWORD
	s_nop 1
	v_cndmask_b32_e32 v14, v14, v15, vcc
; %bb.11:                               ;   in Loop: Header=BB52_7 Depth=2
	s_or_b64 exec, exec, s[22:23]
	s_waitcnt vmcnt(0)
	v_bfe_i32 v13, v13, 0, 8
	v_cvt_f32_i32_sdwa v13, sext(v13) dst_sel:DWORD dst_unused:UNUSED_PAD src0_sel:WORD_0
	global_store_short_d16_hi v[10:11], v14, off offset:-2
	v_mul_f32_e32 v12, v12, v13
	v_and_b32_e32 v13, 0x7f800000, v12
	v_cmp_ne_u32_e32 vcc, s33, v13
                                        ; implicit-def: $vgpr13
	s_and_saveexec_b64 s[22:23], vcc
	s_xor_b64 s[22:23], exec, s[22:23]
; %bb.12:                               ;   in Loop: Header=BB52_7 Depth=2
	v_bfe_u32 v13, v12, 16, 1
	v_add3_u32 v13, v12, v13, s34
                                        ; implicit-def: $vgpr12
; %bb.13:                               ;   in Loop: Header=BB52_7 Depth=2
	s_andn2_saveexec_b64 s[22:23], s[22:23]
	s_cbranch_execz .LBB52_6
; %bb.14:                               ;   in Loop: Header=BB52_7 Depth=2
	v_or_b32_e32 v13, 0x10000, v12
	v_cmp_eq_u32_sdwa vcc, v12, v5 src0_sel:WORD_0 src1_sel:DWORD
	s_nop 1
	v_cndmask_b32_e32 v13, v13, v12, vcc
	s_branch .LBB52_6
.LBB52_15:
	s_endpgm
	.section	.rodata,"a",@progbits
	.p2align	6, 0x0
	.amdhsa_kernel _ZL16dequantize_blockILi32ELi1EXadL_ZL15dequantize_q8_0PKvliR15HIP_vector_typeIfLj2EEEE14__hip_bfloat16EvS1_PT2_lllS2_IjLj3EElll
		.amdhsa_group_segment_fixed_size 0
		.amdhsa_private_segment_fixed_size 0
		.amdhsa_kernarg_size 336
		.amdhsa_user_sgpr_count 2
		.amdhsa_user_sgpr_dispatch_ptr 0
		.amdhsa_user_sgpr_queue_ptr 0
		.amdhsa_user_sgpr_kernarg_segment_ptr 1
		.amdhsa_user_sgpr_dispatch_id 0
		.amdhsa_user_sgpr_kernarg_preload_length 0
		.amdhsa_user_sgpr_kernarg_preload_offset 0
		.amdhsa_user_sgpr_private_segment_size 0
		.amdhsa_uses_dynamic_stack 0
		.amdhsa_enable_private_segment 0
		.amdhsa_system_sgpr_workgroup_id_x 1
		.amdhsa_system_sgpr_workgroup_id_y 1
		.amdhsa_system_sgpr_workgroup_id_z 1
		.amdhsa_system_sgpr_workgroup_info 0
		.amdhsa_system_vgpr_workitem_id 0
		.amdhsa_next_free_vgpr 18
		.amdhsa_next_free_sgpr 39
		.amdhsa_accum_offset 20
		.amdhsa_reserve_vcc 1
		.amdhsa_float_round_mode_32 0
		.amdhsa_float_round_mode_16_64 0
		.amdhsa_float_denorm_mode_32 3
		.amdhsa_float_denorm_mode_16_64 3
		.amdhsa_dx10_clamp 1
		.amdhsa_ieee_mode 1
		.amdhsa_fp16_overflow 0
		.amdhsa_tg_split 0
		.amdhsa_exception_fp_ieee_invalid_op 0
		.amdhsa_exception_fp_denorm_src 0
		.amdhsa_exception_fp_ieee_div_zero 0
		.amdhsa_exception_fp_ieee_overflow 0
		.amdhsa_exception_fp_ieee_underflow 0
		.amdhsa_exception_fp_ieee_inexact 0
		.amdhsa_exception_int_div_zero 0
	.end_amdhsa_kernel
	.section	.text._ZL16dequantize_blockILi32ELi1EXadL_ZL15dequantize_q8_0PKvliR15HIP_vector_typeIfLj2EEEE14__hip_bfloat16EvS1_PT2_lllS2_IjLj3EElll,"axG",@progbits,_ZL16dequantize_blockILi32ELi1EXadL_ZL15dequantize_q8_0PKvliR15HIP_vector_typeIfLj2EEEE14__hip_bfloat16EvS1_PT2_lllS2_IjLj3EElll,comdat
.Lfunc_end52:
	.size	_ZL16dequantize_blockILi32ELi1EXadL_ZL15dequantize_q8_0PKvliR15HIP_vector_typeIfLj2EEEE14__hip_bfloat16EvS1_PT2_lllS2_IjLj3EElll, .Lfunc_end52-_ZL16dequantize_blockILi32ELi1EXadL_ZL15dequantize_q8_0PKvliR15HIP_vector_typeIfLj2EEEE14__hip_bfloat16EvS1_PT2_lllS2_IjLj3EElll
                                        ; -- End function
	.section	.AMDGPU.csdata,"",@progbits
; Kernel info:
; codeLenInByte = 876
; NumSgprs: 45
; NumVgprs: 18
; NumAgprs: 0
; TotalNumVgprs: 18
; ScratchSize: 0
; MemoryBound: 0
; FloatMode: 240
; IeeeMode: 1
; LDSByteSize: 0 bytes/workgroup (compile time only)
; SGPRBlocks: 5
; VGPRBlocks: 2
; NumSGPRsForWavesPerEU: 45
; NumVGPRsForWavesPerEU: 18
; AccumOffset: 20
; Occupancy: 8
; WaveLimiterHint : 0
; COMPUTE_PGM_RSRC2:SCRATCH_EN: 0
; COMPUTE_PGM_RSRC2:USER_SGPR: 2
; COMPUTE_PGM_RSRC2:TRAP_HANDLER: 0
; COMPUTE_PGM_RSRC2:TGID_X_EN: 1
; COMPUTE_PGM_RSRC2:TGID_Y_EN: 1
; COMPUTE_PGM_RSRC2:TGID_Z_EN: 1
; COMPUTE_PGM_RSRC2:TIDIG_COMP_CNT: 0
; COMPUTE_PGM_RSRC3_GFX90A:ACCUM_OFFSET: 4
; COMPUTE_PGM_RSRC3_GFX90A:TG_SPLIT: 0
	.section	.text._ZL13convert_unaryI6__half14__hip_bfloat16EvPKvPT0_lll15HIP_vector_typeIjLj3EElll,"axG",@progbits,_ZL13convert_unaryI6__half14__hip_bfloat16EvPKvPT0_lll15HIP_vector_typeIjLj3EElll,comdat
	.globl	_ZL13convert_unaryI6__half14__hip_bfloat16EvPKvPT0_lll15HIP_vector_typeIjLj3EElll ; -- Begin function _ZL13convert_unaryI6__half14__hip_bfloat16EvPKvPT0_lll15HIP_vector_typeIjLj3EElll
	.p2align	8
	.type	_ZL13convert_unaryI6__half14__hip_bfloat16EvPKvPT0_lll15HIP_vector_typeIjLj3EElll,@function
_ZL13convert_unaryI6__half14__hip_bfloat16EvPKvPT0_lll15HIP_vector_typeIjLj3EElll: ; @_ZL13convert_unaryI6__half14__hip_bfloat16EvPKvPT0_lll15HIP_vector_typeIjLj3EElll
; %bb.0:
	s_mov_b32 s6, s3
	s_load_dword s3, s[0:1], 0x5c
	s_load_dwordx4 s[36:39], s[0:1], 0x10
	s_add_u32 s26, s0, 0x50
	s_addc_u32 s27, s1, 0
	v_mov_b32_e32 v1, 0
	s_waitcnt lgkmcnt(0)
	s_and_b32 s3, s3, 0xffff
	v_mov_b32_e32 v2, s2
	v_mad_u64_u32 v[0:1], s[2:3], s3, v2, v[0:1]
	v_cmp_gt_i64_e32 vcc, s[36:37], v[0:1]
	s_and_saveexec_b64 s[2:3], vcc
	s_cbranch_execz .LBB53_20
; %bb.1:
	s_load_dwordx2 s[40:41], s[0:1], 0x20
	s_mov_b32 s7, 0
	v_mov_b64_e32 v[2:3], s[38:39]
	v_cmp_ge_i64_e32 vcc, s[6:7], v[2:3]
	s_cbranch_vccnz .LBB53_20
; %bb.2:
	s_load_dwordx4 s[20:23], s[0:1], 0x0
	s_load_dwordx8 s[8:15], s[0:1], 0x28
	s_load_dwordx2 s[28:29], s[0:1], 0x48
	s_mov_b32 s0, s4
                                        ; implicit-def: $vgpr28 : SGPR spill to VGPR lane
	s_mul_hi_u32 s1, s38, s36
	v_writelane_b32 v28, s0, 0
	s_mov_b32 s0, s7
	v_writelane_b32 v28, s0, 1
	s_mov_b32 s0, s4
	v_writelane_b32 v28, s0, 2
	v_writelane_b32 v28, s0, 3
	s_mul_i32 s0, s38, s37
	s_add_i32 s0, s1, s0
	s_mul_i32 s1, s39, s36
	s_add_i32 s1, s0, s1
	s_mul_i32 s0, s38, s36
	s_lshl_b64 s[0:1], s[0:1], 1
	v_writelane_b32 v28, s0, 4
	s_mov_b32 s24, s4
	s_mov_b32 s25, s7
	v_writelane_b32 v28, s1, 5
	s_lshl_b64 s[0:1], s[36:37], 1
	v_writelane_b32 v28, s0, 6
	s_waitcnt lgkmcnt(0)
	v_mov_b64_e32 v[4:5], s[40:41]
	v_cmp_lt_i64_e64 s[18:19], s[24:25], v[4:5]
	v_writelane_b32 v28, s1, 7
	v_writelane_b32 v28, s24, 8
	s_mov_b32 s78, s38
	s_mov_b32 s43, s39
	v_writelane_b32 v28, s25, 9
	s_mov_b32 s80, s38
	s_mov_b32 s44, s39
	;; [unrolled: 1-line block ×14, first 2 shown]
	v_mov_b64_e32 v[8:9], s[38:39]
	v_writelane_b32 v28, s36, 10
	s_load_dword s33, s[26:27], 0x4
	v_mov_b64_e32 v[6:7], s[40:41]
	v_writelane_b32 v28, s37, 11
	v_writelane_b32 v28, s38, 12
	;; [unrolled: 1-line block ×4, first 2 shown]
	s_sub_i32 s48, 0, s10
	v_lshl_add_u64 v[2:3], v[0:1], 1, s[22:23]
	v_writelane_b32 v28, s27, 15
	v_writelane_b32 v28, s40, 16
	s_mov_b32 s42, s8
	s_mov_b32 s52, s8
	v_writelane_b32 v28, s41, 17
	s_waitcnt lgkmcnt(0)
	v_writelane_b32 v28, s33, 18
	v_writelane_b32 v28, s18, 19
	s_mov_b32 s53, s8
	s_mov_b32 s77, s8
	v_writelane_b32 v28, s19, 20
	v_writelane_b32 v28, s48, 21
	s_mov_b32 s79, s9
	s_mov_b32 s81, s9
	;; [unrolled: 1-line block ×22, first 2 shown]
	v_lshlrev_b64 v[4:5], 1, v[0:1]
	v_mov_b32_e32 v12, 0x4f800000
	v_mov_b32_e32 v13, 0
	s_mov_b32 s95, 0x7f800000
	s_movk_i32 s96, 0x7fff
	s_mov_b64 s[16:17], s[6:7]
	v_writelane_b32 v28, s71, 22
	v_writelane_b32 v28, s73, 23
	s_branch .LBB53_4
.LBB53_3:                               ;   in Loop: Header=BB53_4 Depth=1
	s_add_u32 s16, s16, s33
	s_addc_u32 s17, s17, 0
	v_cmp_ge_i64_e32 vcc, s[16:17], v[8:9]
	s_cbranch_vccnz .LBB53_20
.LBB53_4:                               ; =>This Loop Header: Depth=1
                                        ;     Child Loop BB53_10 Depth 2
                                        ;     Child Loop BB53_15 Depth 2
	s_andn2_b64 vcc, exec, s[18:19]
	s_cbranch_vccnz .LBB53_3
; %bb.5:                                ;   in Loop: Header=BB53_4 Depth=1
	s_load_dword s6, s[26:27], 0x8
	v_mov_b64_e32 v[10:11], s[40:41]
	s_mov_b32 s30, s7
	s_waitcnt lgkmcnt(0)
	s_add_u32 s0, s24, s6
	s_addc_u32 s1, 0, 0
	v_mov_b64_e32 v[14:15], s[0:1]
	v_cmp_lt_i64_e64 s[2:3], s[0:1], v[10:11]
	v_cmp_gt_i64_e32 vcc, s[40:41], v[14:15]
	s_and_b64 s[10:11], vcc, exec
	v_cndmask_b32_e64 v10, 0, 1, s[2:3]
	s_cselect_b32 s5, s40, s0
	v_readfirstlane_b32 s10, v10
	s_cselect_b32 s4, s41, s1
	s_sub_u32 s5, s5, s10
	s_subb_u32 s4, s4, 0
	s_sub_u32 s0, s5, s0
	s_subb_u32 s31, s4, s1
	s_cmp_lg_u64 s[30:31], 0
	s_cbranch_scc0 .LBB53_19
; %bb.6:                                ;   in Loop: Header=BB53_4 Depth=1
	v_cvt_f32_u32_e32 v10, s6
	s_sub_u32 s1, 0, s6
	s_subb_u32 s4, 0, 0
	v_fmac_f32_e32 v10, 0, v12
	v_rcp_f32_e32 v10, v10
	s_nop 0
	v_mul_f32_e32 v10, 0x5f7ffffc, v10
	v_mul_f32_e32 v11, 0x2f800000, v10
	v_trunc_f32_e32 v11, v11
	v_fmac_f32_e32 v10, 0xcf800000, v11
	v_cvt_u32_f32_e32 v11, v11
	v_cvt_u32_f32_e32 v10, v10
	v_readfirstlane_b32 s5, v11
	v_readfirstlane_b32 s10, v10
	s_mul_i32 s11, s1, s5
	s_mul_hi_u32 s19, s1, s10
	s_mul_i32 s18, s4, s10
	s_add_i32 s11, s19, s11
	s_mul_i32 s22, s1, s10
	s_add_i32 s11, s11, s18
	s_mul_hi_u32 s19, s10, s22
	s_mul_hi_u32 s18, s10, s11
	s_mul_i32 s10, s10, s11
	s_add_u32 s10, s19, s10
	s_addc_u32 s18, 0, s18
	s_mul_hi_u32 s23, s5, s22
	s_mul_i32 s22, s5, s22
	s_add_u32 s10, s10, s22
	s_mul_hi_u32 s19, s5, s11
	s_addc_u32 s10, s18, s23
	s_addc_u32 s18, s19, 0
	s_mul_i32 s11, s5, s11
	s_add_u32 s10, s10, s11
	s_addc_u32 s11, 0, s18
	v_add_co_u32_e32 v10, vcc, s10, v10
	s_cmp_lg_u64 vcc, 0
	s_addc_u32 s5, s5, s11
	v_readfirstlane_b32 s11, v10
	s_mul_i32 s10, s1, s5
	s_mul_hi_u32 s18, s1, s11
	s_add_i32 s10, s18, s10
	s_mul_i32 s4, s4, s11
	s_add_i32 s10, s10, s4
	s_mul_i32 s1, s1, s11
	s_mul_hi_u32 s18, s5, s1
	s_mul_i32 s19, s5, s1
	s_mul_i32 s23, s11, s10
	s_mul_hi_u32 s1, s11, s1
	s_mul_hi_u32 s22, s11, s10
	s_add_u32 s1, s1, s23
	s_addc_u32 s11, 0, s22
	s_add_u32 s1, s1, s19
	s_mul_hi_u32 s4, s5, s10
	s_addc_u32 s1, s11, s18
	s_addc_u32 s4, s4, 0
	s_mul_i32 s10, s5, s10
	s_add_u32 s1, s1, s10
	s_addc_u32 s4, 0, s4
	v_add_co_u32_e32 v10, vcc, s1, v10
	s_cmp_lg_u64 vcc, 0
	s_addc_u32 s1, s5, s4
	v_readfirstlane_b32 s10, v10
	s_mul_i32 s5, s0, s1
	s_mul_hi_u32 s11, s0, s10
	s_mul_hi_u32 s4, s0, s1
	s_add_u32 s5, s11, s5
	s_addc_u32 s4, 0, s4
	s_mul_hi_u32 s18, s31, s10
	s_mul_i32 s10, s31, s10
	s_add_u32 s5, s5, s10
	s_mul_hi_u32 s11, s31, s1
	s_addc_u32 s4, s4, s18
	s_addc_u32 s5, s11, 0
	s_mul_i32 s1, s31, s1
	s_add_u32 s1, s4, s1
	s_addc_u32 s4, 0, s5
	s_add_u32 s5, s1, 1
	s_addc_u32 s10, s4, 0
	s_add_u32 s11, s1, 2
	s_mul_i32 s19, s6, s4
	s_mul_hi_u32 s22, s6, s1
	s_addc_u32 s18, s4, 0
	s_add_i32 s22, s22, s19
	s_mul_i32 s19, s6, s1
	v_mov_b32_e32 v10, s19
	v_sub_co_u32_e32 v10, vcc, s0, v10
	s_cmp_lg_u64 vcc, 0
	s_subb_u32 s19, s31, s22
	v_subrev_co_u32_e32 v11, vcc, s6, v10
	s_cmp_lg_u64 vcc, 0
	s_subb_u32 s22, s19, 0
	v_readfirstlane_b32 s23, v11
	s_cmp_ge_u32 s23, s6
	s_cselect_b32 s23, -1, 0
	s_cmp_eq_u32 s22, 0
	s_cselect_b32 s22, s23, -1
	s_cmp_lg_u32 s22, 0
	s_cselect_b32 s5, s11, s5
	v_readfirstlane_b32 s11, v10
	s_cselect_b32 s10, s18, s10
	s_cmp_ge_u32 s11, s6
	s_cselect_b32 s11, -1, 0
	s_cmp_eq_u32 s19, 0
	s_cselect_b32 s11, s11, -1
	s_cmp_lg_u32 s11, 0
	s_cselect_b32 s35, s10, s4
	s_cselect_b32 s34, s5, s1
	s_cbranch_execnz .LBB53_8
.LBB53_7:                               ;   in Loop: Header=BB53_4 Depth=1
	v_cvt_f32_u32_e32 v10, s6
	s_sub_i32 s1, 0, s6
	s_mov_b32 s35, s7
	v_rcp_iflag_f32_e32 v10, v10
	s_nop 0
	v_mul_f32_e32 v10, 0x4f7ffffe, v10
	v_cvt_u32_f32_e32 v10, v10
	s_nop 0
	v_readfirstlane_b32 s4, v10
	s_mul_i32 s1, s1, s4
	s_mul_hi_u32 s1, s4, s1
	s_add_i32 s4, s4, s1
	s_mul_hi_u32 s1, s0, s4
	s_mul_i32 s5, s1, s6
	s_sub_i32 s0, s0, s5
	s_add_i32 s4, s1, 1
	s_sub_i32 s5, s0, s6
	s_cmp_ge_u32 s0, s6
	s_cselect_b32 s1, s4, s1
	s_cselect_b32 s0, s5, s0
	s_add_i32 s4, s1, 1
	s_cmp_ge_u32 s0, s6
	s_cselect_b32 s34, s4, s1
.LBB53_8:                               ;   in Loop: Header=BB53_4 Depth=1
	s_mul_i32 s0, s16, s13
	s_mul_hi_u32 s1, s16, s12
	s_add_i32 s0, s1, s0
	s_mul_i32 s1, s17, s12
	s_add_i32 s31, s0, s1
	s_and_b64 s[0:1], s[2:3], exec
	s_cselect_b32 s0, 2, 1
	s_add_u32 s2, s0, s34
	s_addc_u32 s3, 0, s35
	v_cmp_gt_u64_e64 s[0:1], s[2:3], 3
	s_mul_i32 s30, s16, s12
	s_mov_b64 s[34:35], -1
	s_and_b64 vcc, exec, s[0:1]
	s_mov_b64 s[36:37], s[24:25]
	s_cbranch_vccz .LBB53_12
; %bb.9:                                ;   in Loop: Header=BB53_4 Depth=1
	s_and_b32 s38, s2, -4
	v_writelane_b32 v28, s2, 24
	s_lshl_b64 s[0:1], s[6:7], 1
	s_mov_b32 s39, s3
	v_writelane_b32 v28, s3, 25
	s_mul_i32 s3, s6, 3
	v_readlane_b32 s4, v28, 2
	s_add_u32 s97, s4, s0
	s_addc_u32 s98, 0, s1
	v_readlane_b32 s0, v28, 3
	s_mul_hi_u32 s2, s6, 3
	s_add_u32 s99, s0, s3
	s_addc_u32 s50, 0, s2
	s_add_u32 s51, s24, s6
	s_addc_u32 s48, 0, 0
	v_readlane_b32 s49, v28, 0
	v_readlane_b32 s33, v28, 1
	v_writelane_b32 v28, s6, 26
	s_lshl_b64 s[36:37], s[6:7], 2
	s_mov_b32 s0, s36
	v_writelane_b32 v28, s7, 27
	v_writelane_b32 v28, s0, 28
	s_mov_b32 s0, s37
	v_writelane_b32 v28, s0, 29
	s_mov_b32 s0, s36
	;; [unrolled: 2-line block ×10, first 2 shown]
	s_mov_b32 s1, s17
	v_writelane_b32 v28, s38, 38
	s_nop 1
	v_writelane_b32 v28, s39, 39
.LBB53_10:                              ;   Parent Loop BB53_4 Depth=1
                                        ; =>  This Inner Loop Header: Depth=2
	s_mul_hi_u32 s2, s49, s42
	s_mul_i32 s3, s99, s46
	s_mul_hi_u32 s4, s99, s84
	s_mul_i32 s34, s97, s45
	;; [unrolled: 2-line block ×3, first 2 shown]
	s_mul_hi_u32 s41, s51, s80
	s_add_i32 s2, s2, s49
	s_mul_i32 s5, s50, s84
	s_mov_b32 s71, s42
	s_mul_i32 s42, s49, s43
	s_mov_b32 s10, s43
	s_mul_hi_u32 s43, s49, s78
	s_mov_b32 s11, s44
	s_mul_i32 s44, s98, s82
	s_mov_b32 s18, s45
	s_mul_i32 s45, s48, s80
	s_mul_hi_u32 s47, s99, s77
	s_add_i32 s3, s4, s3
	s_mul_hi_u32 s4, s97, s53
	s_add_i32 s34, s35, s34
	s_add_i32 s40, s41, s40
	s_lshr_b32 s2, s2, s79
	s_mul_hi_u32 s35, s51, s52
	s_add_i32 s41, s43, s42
	s_add_i32 s47, s47, s99
	;; [unrolled: 1-line block ×6, first 2 shown]
	s_mul_i32 s5, s29, s2
	s_mul_hi_u32 s34, s28, s2
	s_mul_i32 s40, s28, s2
	s_mul_i32 s2, s2, s58
	s_mov_b32 s19, s46
	s_mul_i32 s46, s33, s78
	s_add_i32 s35, s35, s51
	s_lshr_b32 s3, s4, s56
	s_lshr_b32 s4, s47, s85
	s_sub_i32 s2, s49, s2
	s_add_i32 s45, s41, s46
	s_lshr_b32 s46, s35, s81
	s_mul_i32 s35, s65, s4
	s_mul_hi_u32 s47, s68, s4
	s_add_i32 s41, s34, s5
	s_mul_i32 vcc_lo, s68, s4
	s_mov_b32 s73, s52
	s_mul_i32 s52, s4, s93
	s_mul_i32 s4, s67, s2
	s_mul_hi_u32 s5, s69, s2
	s_add_i32 vcc_hi, s47, s35
	s_add_i32 s35, s5, s4
	s_mul_i32 s34, s69, s2
	s_mul_i32 s2, s63, s3
	s_mul_hi_u32 s4, s66, s3
	s_add_i32 s5, s4, s2
	s_mul_i32 s4, s66, s3
	s_mul_i32 s47, s3, s91
	s_mul_i32 s2, s94, s46
	s_mul_hi_u32 s3, s64, s46
	s_sub_i32 s52, s99, s52
	s_add_i32 s3, s3, s2
	s_mul_i32 s2, s64, s46
	s_mul_i32 s46, s46, s59
	s_sub_i32 s54, s97, s47
	s_mul_i32 s47, s75, s52
	s_mov_b32 s25, s75
	s_mov_b32 s75, s53
	s_mul_hi_u32 s53, s83, s52
	s_sub_i32 s46, s51, s46
	s_add_i32 s53, s53, s47
	s_mul_i32 s47, s76, s54
	s_mul_hi_u32 s55, s74, s54
	s_add_i32 s55, s55, s47
	s_mul_i32 s47, s72, s46
	s_mov_b32 s24, s83
	s_mov_b32 s83, s56
	s_mul_hi_u32 s56, s70, s46
	s_add_i32 s57, s56, s47
	s_mul_i32 s47, s49, s78
	s_add_u32 s60, s47, s16
	s_addc_u32 s45, s45, s17
	s_mul_i32 s47, s51, s80
	v_readlane_b32 s6, v28, 34
	s_add_u32 s61, s47, s6
	v_readlane_b32 s6, v28, 35
	s_addc_u32 s44, s44, s6
	s_mul_i32 s47, s97, s82
	v_readlane_b32 s6, v28, 36
	s_add_u32 s62, s47, s6
	v_readlane_b32 s6, v28, 37
	s_addc_u32 s43, s43, s6
	s_mul_i32 s47, s99, s84
	v_readlane_b32 s7, v28, 22
	s_mov_b32 s6, s63
	s_add_u32 s63, s47, s0
	s_mul_i32 s47, s62, s7
	s_mul_hi_u32 s56, s62, s90
	s_addc_u32 s42, s42, s1
	s_add_i32 s47, s56, s47
	s_mul_i32 s56, s61, s87
	s_mov_b32 s27, s87
	s_mov_b32 s87, s58
	s_mul_hi_u32 s58, s61, s88
	s_add_i32 s56, s58, s56
	s_mul_i32 s58, s60, s89
	s_mov_b32 s26, s89
	s_mov_b32 s89, s59
	s_mul_hi_u32 s59, s60, s86
	v_readlane_b32 s22, v28, 23
	s_mov_b32 s7, s65
	s_add_i32 s65, s59, s58
	s_mul_i32 s58, s63, s22
	s_mul_hi_u32 s59, s63, s92
	s_mov_b32 s22, s74
	s_mov_b32 s74, s70
	;; [unrolled: 1-line block ×6, first 2 shown]
	s_add_i32 s67, s59, s58
	s_mul_i32 s23, s45, s86
	s_mul_i32 s44, s44, s88
	;; [unrolled: 1-line block ×4, first 2 shown]
	s_lshl_b64 s[58:59], s[40:41], 1
	s_add_i32 s41, s47, s43
	s_add_i32 s45, s56, s44
	;; [unrolled: 1-line block ×4, first 2 shown]
	s_add_u32 s40, s20, s58
	s_addc_u32 s42, s21, s59
	s_lshl_b64 s[2:3], s[2:3], 1
	s_add_u32 s44, s20, s2
	s_addc_u32 s58, s21, s3
	s_lshl_b64 s[2:3], s[4:5], 1
	s_add_u32 s4, s20, s2
	s_addc_u32 s5, s21, s3
	s_lshl_b64 s[2:3], vcc, 1
	s_add_u32 s59, s20, s2
	s_mov_b32 s67, s64
	s_mov_b32 s64, s66
	s_mov_b32 s66, s68
	s_mov_b32 s68, s70
	s_mov_b32 s70, s74
	s_addc_u32 s65, s21, s3
	s_lshl_b64 s[2:3], s[34:35], 1
	s_add_u32 s34, s40, s2
	s_mul_i32 s56, s70, s46
	s_addc_u32 s35, s42, s3
	s_lshl_b64 s[2:3], s[56:57], 1
	s_add_u32 s40, s44, s2
	s_mul_i32 s54, s22, s54
	;; [unrolled: 4-line block ×3, first 2 shown]
	s_addc_u32 s46, s5, s3
	s_lshl_b64 s[2:3], s[52:53], 1
	s_add_u32 s54, s59, s2
	s_addc_u32 s55, s65, s3
	s_lshl_b64 s[2:3], s[30:31], 1
	s_add_u32 s4, s34, s2
	s_addc_u32 s5, s35, s3
	s_add_u32 s34, s40, s2
	s_addc_u32 s35, s42, s3
	;; [unrolled: 2-line block ×3, first 2 shown]
	v_lshl_add_u64 v[10:11], s[4:5], 0, v[4:5]
	v_lshl_add_u64 v[14:15], s[34:35], 0, v[4:5]
	;; [unrolled: 1-line block ×3, first 2 shown]
	global_load_ushort v20, v[10:11], off
	global_load_ushort v21, v[14:15], off
	;; [unrolled: 1-line block ×3, first 2 shown]
	s_add_u32 s2, s54, s2
	s_addc_u32 s3, s55, s3
	v_lshl_add_u64 v[10:11], s[2:3], 0, v[4:5]
	global_load_ushort v23, v[10:11], off
	v_readlane_b32 s2, v28, 32
	s_add_u32 s99, s99, s2
	v_readlane_b32 s2, v28, 33
	s_addc_u32 s50, s50, s2
	v_readlane_b32 s2, v28, 30
	s_add_u32 s97, s97, s2
	v_readlane_b32 s2, v28, 31
	s_addc_u32 s98, s98, s2
	v_readlane_b32 s2, v28, 28
	s_mul_i32 s46, s60, s86
	s_add_u32 s51, s51, s2
	v_readlane_b32 s2, v28, 29
	v_lshl_add_u64 v[10:11], s[46:47], 1, v[2:3]
	s_addc_u32 s48, s48, s2
	s_mul_i32 s44, s61, s88
	s_add_u32 s49, s49, s36
	v_lshl_add_u64 v[14:15], s[44:45], 1, v[2:3]
	s_addc_u32 s33, s33, s37
	s_add_u32 s38, s38, -4
	s_mul_i32 s40, s62, s90
	s_mul_i32 s42, s63, s92
	s_addc_u32 s39, s39, -1
	s_mov_b32 s74, s22
	s_mov_b32 s56, s83
	;; [unrolled: 1-line block ×15, first 2 shown]
	v_lshl_add_u64 v[16:17], s[40:41], 1, v[2:3]
	v_lshl_add_u64 v[18:19], s[42:43], 1, v[2:3]
	s_mov_b32 s43, s10
	s_mov_b32 s42, s71
	s_cmp_lg_u64 s[38:39], 0
	s_waitcnt vmcnt(3)
	v_cvt_f32_f16_e32 v20, v20
	s_waitcnt vmcnt(2)
	v_cvt_f32_f16_e32 v21, v21
	;; [unrolled: 2-line block ×3, first 2 shown]
	v_and_b32_e32 v24, 0x7f800000, v20
	v_bfe_u32 v25, v20, 16, 1
	v_or_b32_e32 v26, 0x10000, v20
	v_cmp_eq_u32_sdwa vcc, v20, v13 src0_sel:WORD_0 src1_sel:DWORD
	v_add3_u32 v25, v20, v25, s96
	s_waitcnt vmcnt(0)
	v_cvt_f32_f16_e32 v23, v23
	v_cndmask_b32_e32 v20, v26, v20, vcc
	v_cmp_eq_u32_e32 vcc, s95, v24
	v_and_b32_e32 v24, 0x7f800000, v21
	v_bfe_u32 v26, v21, 16, 1
	v_or_b32_e32 v27, 0x10000, v21
	v_cndmask_b32_e32 v20, v25, v20, vcc
	v_cmp_eq_u32_sdwa vcc, v21, v13 src0_sel:WORD_0 src1_sel:DWORD
	v_add3_u32 v25, v21, v26, s96
	global_store_short_d16_hi v[10:11], v20, off
	v_cndmask_b32_e32 v21, v27, v21, vcc
	v_cmp_eq_u32_e32 vcc, s95, v24
	v_and_b32_e32 v10, 0x7f800000, v22
	v_bfe_u32 v11, v22, 16, 1
	v_or_b32_e32 v20, 0x10000, v22
	v_cndmask_b32_e32 v21, v25, v21, vcc
	v_cmp_eq_u32_sdwa vcc, v22, v13 src0_sel:WORD_0 src1_sel:DWORD
	v_add3_u32 v11, v22, v11, s96
	global_store_short_d16_hi v[14:15], v21, off
	;; [unrolled: 9-line block ×3, first 2 shown]
	v_cndmask_b32_e32 v15, v15, v23, vcc
	v_cmp_eq_u32_e32 vcc, s95, v10
	s_nop 1
	v_cndmask_b32_e32 v10, v14, v15, vcc
	global_store_short_d16_hi v[18:19], v10, off
	s_cbranch_scc1 .LBB53_10
; %bb.11:                               ;   in Loop: Header=BB53_4 Depth=1
	v_readlane_b32 s2, v28, 38
	v_readlane_b32 s6, v28, 26
	;; [unrolled: 1-line block ×3, first 2 shown]
	s_mul_i32 s0, s3, s6
	s_mul_hi_u32 s1, s2, s6
	s_add_i32 s1, s1, s0
	s_mul_i32 s0, s2, s6
	v_readlane_b32 s24, v28, 8
	s_add_u32 s36, s0, s24
	s_addc_u32 s37, s1, 0
	v_readlane_b32 s0, v28, 24
	v_readlane_b32 s1, v28, 25
	s_cmp_lg_u64 s[0:1], s[2:3]
	v_readlane_b32 s0, v28, 10
	v_readlane_b32 s2, v28, 12
	;; [unrolled: 1-line block ×7, first 2 shown]
	s_cselect_b64 s[34:35], -1, 0
	s_mov_b64 s[38:39], s[2:3]
	v_readlane_b32 s27, v28, 15
	v_readlane_b32 s41, v28, 17
	;; [unrolled: 1-line block ×7, first 2 shown]
.LBB53_12:                              ;   in Loop: Header=BB53_4 Depth=1
	v_readlane_b32 s18, v28, 19
	s_and_b64 vcc, exec, s[34:35]
	v_readlane_b32 s19, v28, 20
	s_cbranch_vccz .LBB53_3
; %bb.13:                               ;   in Loop: Header=BB53_4 Depth=1
	s_mul_i32 s0, s38, s37
	s_mul_hi_u32 s1, s38, s36
	s_add_i32 s0, s1, s0
	s_mul_i32 s1, s39, s36
	s_add_i32 s0, s0, s1
	s_mul_i32 s1, s38, s36
	s_add_u32 s1, s16, s1
	v_readlane_b32 s4, v28, 6
	s_addc_u32 s0, s17, s0
	v_readlane_b32 s5, v28, 7
	s_mul_i32 s2, s5, s1
	s_mul_i32 s0, s4, s0
	v_mov_b32_e32 v10, s1
	s_add_i32 s2, s0, s2
	v_mad_u64_u32 v[10:11], s[0:1], s4, v10, v[2:3]
	v_add_u32_e32 v11, s2, v11
	v_readlane_b32 s2, v28, 4
	v_readlane_b32 s3, v28, 5
	s_mul_i32 s0, s3, s6
	s_mul_hi_u32 s1, s2, s6
	s_add_i32 s3, s1, s0
	s_mul_i32 s2, s2, s6
	s_branch .LBB53_15
.LBB53_14:                              ;   in Loop: Header=BB53_15 Depth=2
	s_or_b64 exec, exec, s[34:35]
	s_add_u32 s36, s36, s6
	s_addc_u32 s37, s37, 0
	v_cmp_ge_i64_e32 vcc, s[36:37], v[6:7]
	global_store_short_d16_hi v[10:11], v15, off
	v_lshl_add_u64 v[10:11], v[10:11], 0, s[2:3]
	s_cbranch_vccnz .LBB53_3
.LBB53_15:                              ;   Parent Loop BB53_4 Depth=1
                                        ; =>  This Inner Loop Header: Depth=2
	s_mul_hi_u32 s0, s8, s36
	s_add_i32 s0, s36, s0
	s_lshr_b32 s0, s0, s9
	s_mul_i32 s1, s48, s0
	s_add_i32 s4, s36, s1
	s_mul_i32 s1, s0, s29
	s_mul_hi_u32 s5, s0, s28
	s_add_i32 s1, s5, s1
	s_mul_i32 s0, s0, s28
	s_mul_i32 s5, s4, s15
	s_mul_hi_u32 s10, s4, s14
	s_add_i32 s5, s10, s5
	s_lshl_b64 s[0:1], s[0:1], 1
	s_mul_i32 s4, s4, s14
	s_add_u32 s10, s20, s0
	s_addc_u32 s11, s21, s1
	s_lshl_b64 s[0:1], s[4:5], 1
	s_add_u32 s4, s10, s0
	s_addc_u32 s5, s11, s1
	s_lshl_b64 s[0:1], s[30:31], 1
	s_add_u32 s0, s4, s0
	s_addc_u32 s1, s5, s1
	v_lshl_add_u64 v[14:15], v[0:1], 1, s[0:1]
	global_load_ushort v14, v[14:15], off
	s_waitcnt vmcnt(0)
	v_cvt_f32_f16_e32 v14, v14
	v_and_b32_e32 v15, 0x7f800000, v14
	v_cmp_ne_u32_e32 vcc, s95, v15
                                        ; implicit-def: $vgpr15
	s_and_saveexec_b64 s[0:1], vcc
	s_xor_b64 s[34:35], exec, s[0:1]
; %bb.16:                               ;   in Loop: Header=BB53_15 Depth=2
	v_bfe_u32 v15, v14, 16, 1
	v_add3_u32 v15, v14, v15, s96
                                        ; implicit-def: $vgpr14
; %bb.17:                               ;   in Loop: Header=BB53_15 Depth=2
	s_andn2_saveexec_b64 s[34:35], s[34:35]
	s_cbranch_execz .LBB53_14
; %bb.18:                               ;   in Loop: Header=BB53_15 Depth=2
	v_or_b32_e32 v15, 0x10000, v14
	v_cmp_eq_u32_sdwa vcc, v14, v13 src0_sel:WORD_0 src1_sel:DWORD
	s_nop 1
	v_cndmask_b32_e32 v15, v15, v14, vcc
	s_branch .LBB53_14
.LBB53_19:                              ;   in Loop: Header=BB53_4 Depth=1
                                        ; implicit-def: $sgpr34_sgpr35
	s_branch .LBB53_7
.LBB53_20:
	s_endpgm
	.section	.rodata,"a",@progbits
	.p2align	6, 0x0
	.amdhsa_kernel _ZL13convert_unaryI6__half14__hip_bfloat16EvPKvPT0_lll15HIP_vector_typeIjLj3EElll
		.amdhsa_group_segment_fixed_size 0
		.amdhsa_private_segment_fixed_size 0
		.amdhsa_kernarg_size 336
		.amdhsa_user_sgpr_count 2
		.amdhsa_user_sgpr_dispatch_ptr 0
		.amdhsa_user_sgpr_queue_ptr 0
		.amdhsa_user_sgpr_kernarg_segment_ptr 1
		.amdhsa_user_sgpr_dispatch_id 0
		.amdhsa_user_sgpr_kernarg_preload_length 0
		.amdhsa_user_sgpr_kernarg_preload_offset 0
		.amdhsa_user_sgpr_private_segment_size 0
		.amdhsa_uses_dynamic_stack 0
		.amdhsa_enable_private_segment 0
		.amdhsa_system_sgpr_workgroup_id_x 1
		.amdhsa_system_sgpr_workgroup_id_y 1
		.amdhsa_system_sgpr_workgroup_id_z 1
		.amdhsa_system_sgpr_workgroup_info 0
		.amdhsa_system_vgpr_workitem_id 0
		.amdhsa_next_free_vgpr 29
		.amdhsa_next_free_sgpr 100
		.amdhsa_accum_offset 32
		.amdhsa_reserve_vcc 1
		.amdhsa_float_round_mode_32 0
		.amdhsa_float_round_mode_16_64 0
		.amdhsa_float_denorm_mode_32 3
		.amdhsa_float_denorm_mode_16_64 3
		.amdhsa_dx10_clamp 1
		.amdhsa_ieee_mode 1
		.amdhsa_fp16_overflow 0
		.amdhsa_tg_split 0
		.amdhsa_exception_fp_ieee_invalid_op 0
		.amdhsa_exception_fp_denorm_src 0
		.amdhsa_exception_fp_ieee_div_zero 0
		.amdhsa_exception_fp_ieee_overflow 0
		.amdhsa_exception_fp_ieee_underflow 0
		.amdhsa_exception_fp_ieee_inexact 0
		.amdhsa_exception_int_div_zero 0
	.end_amdhsa_kernel
	.section	.text._ZL13convert_unaryI6__half14__hip_bfloat16EvPKvPT0_lll15HIP_vector_typeIjLj3EElll,"axG",@progbits,_ZL13convert_unaryI6__half14__hip_bfloat16EvPKvPT0_lll15HIP_vector_typeIjLj3EElll,comdat
.Lfunc_end53:
	.size	_ZL13convert_unaryI6__half14__hip_bfloat16EvPKvPT0_lll15HIP_vector_typeIjLj3EElll, .Lfunc_end53-_ZL13convert_unaryI6__half14__hip_bfloat16EvPKvPT0_lll15HIP_vector_typeIjLj3EElll
                                        ; -- End function
	.section	.AMDGPU.csdata,"",@progbits
; Kernel info:
; codeLenInByte = 3416
; NumSgprs: 106
; NumVgprs: 29
; NumAgprs: 0
; TotalNumVgprs: 29
; ScratchSize: 0
; MemoryBound: 0
; FloatMode: 240
; IeeeMode: 1
; LDSByteSize: 0 bytes/workgroup (compile time only)
; SGPRBlocks: 13
; VGPRBlocks: 3
; NumSGPRsForWavesPerEU: 106
; NumVGPRsForWavesPerEU: 29
; AccumOffset: 32
; Occupancy: 7
; WaveLimiterHint : 0
; COMPUTE_PGM_RSRC2:SCRATCH_EN: 0
; COMPUTE_PGM_RSRC2:USER_SGPR: 2
; COMPUTE_PGM_RSRC2:TRAP_HANDLER: 0
; COMPUTE_PGM_RSRC2:TGID_X_EN: 1
; COMPUTE_PGM_RSRC2:TGID_Y_EN: 1
; COMPUTE_PGM_RSRC2:TGID_Z_EN: 1
; COMPUTE_PGM_RSRC2:TIDIG_COMP_CNT: 0
; COMPUTE_PGM_RSRC3_GFX90A:ACCUM_OFFSET: 7
; COMPUTE_PGM_RSRC3_GFX90A:TG_SPLIT: 0
	.section	.text._ZL13convert_unaryI6__halffEvPKvPT0_lll15HIP_vector_typeIjLj3EElll,"axG",@progbits,_ZL13convert_unaryI6__halffEvPKvPT0_lll15HIP_vector_typeIjLj3EElll,comdat
	.globl	_ZL13convert_unaryI6__halffEvPKvPT0_lll15HIP_vector_typeIjLj3EElll ; -- Begin function _ZL13convert_unaryI6__halffEvPKvPT0_lll15HIP_vector_typeIjLj3EElll
	.p2align	8
	.type	_ZL13convert_unaryI6__halffEvPKvPT0_lll15HIP_vector_typeIjLj3EElll,@function
_ZL13convert_unaryI6__halffEvPKvPT0_lll15HIP_vector_typeIjLj3EElll: ; @_ZL13convert_unaryI6__halffEvPKvPT0_lll15HIP_vector_typeIjLj3EElll
; %bb.0:
	s_mov_b32 s6, s3
	s_load_dword s3, s[0:1], 0x5c
	s_load_dwordx4 s[16:19], s[0:1], 0x10
	s_add_u32 s24, s0, 0x50
	s_addc_u32 s25, s1, 0
	v_mov_b32_e32 v1, 0
	s_waitcnt lgkmcnt(0)
	s_and_b32 s3, s3, 0xffff
	v_mov_b32_e32 v2, s2
	v_mad_u64_u32 v[0:1], s[2:3], s3, v2, v[0:1]
	v_cmp_gt_i64_e32 vcc, s[16:17], v[0:1]
	s_and_saveexec_b64 s[2:3], vcc
	s_cbranch_execz .LBB54_16
; %bb.1:
	s_load_dwordx2 s[26:27], s[0:1], 0x20
	s_mov_b32 s7, 0
	v_mov_b64_e32 v[2:3], s[18:19]
	v_cmp_ge_i64_e32 vcc, s[6:7], v[2:3]
	s_cbranch_vccnz .LBB54_16
; %bb.2:
	s_load_dwordx4 s[20:23], s[0:1], 0x0
	s_load_dwordx8 s[8:15], s[0:1], 0x28
	s_load_dwordx2 s[28:29], s[0:1], 0x48
	s_waitcnt lgkmcnt(0)
	s_load_dword s11, s[24:25], 0x4
	s_mul_i32 s0, s18, s17
	s_mul_hi_u32 s1, s18, s16
	s_add_i32 s0, s1, s0
	s_mul_i32 s1, s19, s16
	s_mov_b32 s5, s7
	v_mov_b64_e32 v[4:5], s[26:27]
	s_add_i32 s1, s0, s1
	s_mul_i32 s0, s18, s16
	v_lshl_add_u64 v[2:3], v[0:1], 2, s[22:23]
	s_mov_b32 s33, s4
	s_mov_b32 s42, s7
	;; [unrolled: 1-line block ×21, first 2 shown]
	s_lshl_b64 s[22:23], s[16:17], 2
	s_lshl_b64 s[16:17], s[0:1], 2
	s_sub_i32 s62, 0, s10
	v_cmp_lt_i64_e64 s[0:1], s[4:5], v[4:5]
	v_lshlrev_b64 v[4:5], 1, v[0:1]
	v_mov_b64_e32 v[6:7], s[18:19]
	v_mov_b32_e32 v12, 0x4f800000
	v_mov_b64_e32 v[8:9], s[26:27]
	s_mov_b64 s[30:31], s[6:7]
	s_branch .LBB54_4
.LBB54_3:                               ;   in Loop: Header=BB54_4 Depth=1
	s_waitcnt lgkmcnt(0)
	s_add_u32 s30, s30, s11
	s_addc_u32 s31, s31, 0
	v_cmp_ge_i64_e32 vcc, s[30:31], v[6:7]
	s_cbranch_vccnz .LBB54_16
.LBB54_4:                               ; =>This Loop Header: Depth=1
                                        ;     Child Loop BB54_10 Depth 2
                                        ;     Child Loop BB54_14 Depth 2
	s_andn2_b64 vcc, exec, s[0:1]
	s_cbranch_vccnz .LBB54_3
; %bb.5:                                ;   in Loop: Header=BB54_4 Depth=1
	s_load_dword s6, s[24:25], 0x8
	v_mov_b64_e32 v[10:11], s[26:27]
	s_waitcnt lgkmcnt(0)
	s_add_u32 s34, s4, s6
	s_addc_u32 s35, 0, 0
	v_mov_b64_e32 v[14:15], s[34:35]
	v_cmp_lt_i64_e64 s[2:3], s[34:35], v[10:11]
	v_cmp_gt_i64_e32 vcc, s[26:27], v[14:15]
	s_and_b64 s[36:37], vcc, exec
	v_cndmask_b32_e64 v10, 0, 1, s[2:3]
	s_cselect_b32 s37, s26, s34
	v_readfirstlane_b32 s38, v10
	s_cselect_b32 s36, s27, s35
	s_sub_u32 s37, s37, s38
	s_subb_u32 s36, s36, 0
	s_sub_u32 s38, s37, s34
	s_subb_u32 s35, s36, s35
	s_mov_b32 s34, s7
	s_cmp_lg_u64 s[34:35], 0
	s_cbranch_scc0 .LBB54_15
; %bb.6:                                ;   in Loop: Header=BB54_4 Depth=1
	v_cvt_f32_u32_e32 v10, s6
	s_sub_u32 s34, 0, s6
	s_subb_u32 s36, 0, 0
	v_fmac_f32_e32 v10, 0, v12
	v_rcp_f32_e32 v10, v10
	s_nop 0
	v_mul_f32_e32 v10, 0x5f7ffffc, v10
	v_mul_f32_e32 v11, 0x2f800000, v10
	v_trunc_f32_e32 v11, v11
	v_fmac_f32_e32 v10, 0xcf800000, v11
	v_cvt_u32_f32_e32 v11, v11
	v_cvt_u32_f32_e32 v10, v10
	v_readfirstlane_b32 s37, v11
	v_readfirstlane_b32 s39, v10
	s_mul_i32 s40, s34, s37
	s_mul_hi_u32 s63, s34, s39
	s_mul_i32 s41, s36, s39
	s_add_i32 s40, s63, s40
	s_mul_i32 s64, s34, s39
	s_add_i32 s40, s40, s41
	s_mul_hi_u32 s63, s39, s64
	s_mul_hi_u32 s41, s39, s40
	s_mul_i32 s39, s39, s40
	s_add_u32 s39, s63, s39
	s_addc_u32 s41, 0, s41
	s_mul_hi_u32 s65, s37, s64
	s_mul_i32 s64, s37, s64
	s_add_u32 s39, s39, s64
	s_mul_hi_u32 s63, s37, s40
	s_addc_u32 s39, s41, s65
	s_addc_u32 s41, s63, 0
	s_mul_i32 s40, s37, s40
	s_add_u32 s39, s39, s40
	s_addc_u32 s40, 0, s41
	v_add_co_u32_e32 v10, vcc, s39, v10
	s_cmp_lg_u64 vcc, 0
	s_addc_u32 s37, s37, s40
	v_readfirstlane_b32 s40, v10
	s_mul_i32 s39, s34, s37
	s_mul_hi_u32 s41, s34, s40
	s_add_i32 s39, s41, s39
	s_mul_i32 s36, s36, s40
	s_add_i32 s39, s39, s36
	s_mul_i32 s34, s34, s40
	s_mul_hi_u32 s41, s37, s34
	s_mul_i32 s63, s37, s34
	s_mul_i32 s65, s40, s39
	s_mul_hi_u32 s34, s40, s34
	s_mul_hi_u32 s64, s40, s39
	s_add_u32 s34, s34, s65
	s_addc_u32 s40, 0, s64
	s_add_u32 s34, s34, s63
	s_mul_hi_u32 s36, s37, s39
	s_addc_u32 s34, s40, s41
	s_addc_u32 s36, s36, 0
	s_mul_i32 s39, s37, s39
	s_add_u32 s34, s34, s39
	s_addc_u32 s36, 0, s36
	v_add_co_u32_e32 v10, vcc, s34, v10
	s_cmp_lg_u64 vcc, 0
	s_addc_u32 s34, s37, s36
	v_readfirstlane_b32 s39, v10
	s_mul_i32 s37, s38, s34
	s_mul_hi_u32 s40, s38, s39
	s_mul_hi_u32 s36, s38, s34
	s_add_u32 s37, s40, s37
	s_addc_u32 s36, 0, s36
	s_mul_hi_u32 s41, s35, s39
	s_mul_i32 s39, s35, s39
	s_add_u32 s37, s37, s39
	s_mul_hi_u32 s40, s35, s34
	s_addc_u32 s36, s36, s41
	s_addc_u32 s37, s40, 0
	s_mul_i32 s34, s35, s34
	s_add_u32 s34, s36, s34
	s_addc_u32 s36, 0, s37
	s_add_u32 s37, s34, 1
	s_addc_u32 s39, s36, 0
	s_add_u32 s40, s34, 2
	s_mul_i32 s63, s6, s36
	s_mul_hi_u32 s64, s6, s34
	s_addc_u32 s41, s36, 0
	s_add_i32 s64, s64, s63
	s_mul_i32 s63, s6, s34
	v_mov_b32_e32 v10, s63
	v_sub_co_u32_e32 v10, vcc, s38, v10
	s_cmp_lg_u64 vcc, 0
	s_subb_u32 s35, s35, s64
	v_subrev_co_u32_e32 v11, vcc, s6, v10
	s_cmp_lg_u64 vcc, 0
	s_subb_u32 s63, s35, 0
	v_readfirstlane_b32 s64, v11
	s_cmp_ge_u32 s64, s6
	s_cselect_b32 s64, -1, 0
	s_cmp_eq_u32 s63, 0
	s_cselect_b32 s63, s64, -1
	s_cmp_lg_u32 s63, 0
	s_cselect_b32 s40, s40, s37
	s_cselect_b32 s37, s41, s39
	v_readfirstlane_b32 s39, v10
	s_cmp_ge_u32 s39, s6
	s_cselect_b32 s39, -1, 0
	s_cmp_eq_u32 s35, 0
	s_cselect_b32 s35, s39, -1
	s_cmp_lg_u32 s35, 0
	s_cselect_b32 s37, s37, s36
	s_cselect_b32 s36, s40, s34
	s_cbranch_execnz .LBB54_8
.LBB54_7:                               ;   in Loop: Header=BB54_4 Depth=1
	v_cvt_f32_u32_e32 v10, s6
	s_sub_i32 s34, 0, s6
	v_rcp_iflag_f32_e32 v10, v10
	s_nop 0
	v_mul_f32_e32 v10, 0x4f7ffffe, v10
	v_cvt_u32_f32_e32 v10, v10
	s_nop 0
	v_readfirstlane_b32 s35, v10
	s_mul_i32 s34, s34, s35
	s_mul_hi_u32 s34, s35, s34
	s_add_i32 s35, s35, s34
	s_mul_hi_u32 s34, s38, s35
	s_mul_i32 s36, s34, s6
	s_sub_i32 s36, s38, s36
	s_add_i32 s35, s34, 1
	s_sub_i32 s37, s36, s6
	s_cmp_ge_u32 s36, s6
	s_cselect_b32 s34, s35, s34
	s_cselect_b32 s36, s37, s36
	s_add_i32 s35, s34, 1
	s_cmp_ge_u32 s36, s6
	s_cselect_b32 s36, s35, s34
	s_mov_b32 s37, s7
.LBB54_8:                               ;   in Loop: Header=BB54_4 Depth=1
	s_mul_i32 s34, s30, s13
	s_mul_hi_u32 s35, s30, s12
	s_add_i32 s34, s35, s34
	s_mul_i32 s35, s31, s12
	s_add_i32 s35, s34, s35
	s_and_b64 s[2:3], s[2:3], exec
	s_cselect_b32 s2, 2, 1
	s_add_u32 s2, s2, s36
	s_addc_u32 s3, 0, s37
	v_cmp_gt_u64_e64 s[38:39], s[2:3], 1
	s_mul_i32 s34, s30, s12
	s_mov_b64 s[36:37], -1
	s_and_b64 vcc, exec, s[38:39]
	s_mov_b64 s[38:39], s[4:5]
	s_cbranch_vccz .LBB54_12
; %bb.9:                                ;   in Loop: Header=BB54_4 Depth=1
	s_and_b32 s36, s2, -2
	s_add_u32 s63, s4, s6
	s_mov_b32 s37, s3
	s_addc_u32 s64, 0, 0
	s_lshl_b64 s[38:39], s[6:7], 1
	s_mov_b32 s65, s33
	s_mov_b32 s66, s42
	;; [unrolled: 1-line block ×6, first 2 shown]
	s_mov_b64 s[40:41], s[36:37]
.LBB54_10:                              ;   Parent Loop BB54_4 Depth=1
                                        ; =>  This Inner Loop Header: Depth=2
	s_mul_hi_u32 s71, s65, s43
	s_mul_hi_u32 s72, s63, s44
	s_mul_i32 s73, s63, s57
	s_mul_hi_u32 s74, s63, s56
	s_add_i32 s72, s72, s63
	s_add_i32 s71, s71, s65
	s_mul_i32 s75, s64, s56
	s_mul_i32 s76, s65, s55
	s_mul_hi_u32 s77, s65, s54
	s_add_i32 s73, s74, s73
	s_lshr_b32 s71, s71, s45
	s_lshr_b32 s72, s72, s46
	s_mul_i32 s78, s66, s54
	s_add_i32 s74, s77, s76
	s_add_i32 s82, s73, s75
	s_mul_i32 s73, s72, s47
	s_mul_i32 s75, s71, s10
	s_add_i32 s83, s74, s78
	s_mul_i32 s76, s49, s72
	s_mul_hi_u32 s77, s48, s72
	s_mul_i32 s78, s29, s71
	s_mul_hi_u32 s79, s28, s71
	s_mul_i32 s74, s28, s71
	s_sub_i32 s71, s65, s75
	s_sub_i32 s84, s63, s73
	s_add_i32 s73, s77, s76
	s_add_i32 s75, s79, s78
	s_mul_i32 s77, s53, s84
	s_mul_hi_u32 s79, s52, s84
	s_mul_i32 s76, s52, s84
	s_mul_i32 s84, s51, s71
	s_mul_hi_u32 s85, s50, s71
	s_mul_i32 s81, s65, s54
	s_add_i32 s77, s79, s77
	s_add_i32 s79, s85, s84
	s_mul_i32 s78, s50, s71
	s_add_u32 s71, s81, s30
	s_mul_i32 s80, s63, s56
	s_addc_u32 s81, s83, s31
	s_add_u32 s85, s80, s69
	s_mul_i32 s83, s71, s59
	s_mul_hi_u32 s84, s71, s58
	s_addc_u32 s80, s82, s70
	s_mul_i32 s82, s85, s61
	s_mul_hi_u32 s86, s85, s60
	s_mul_i32 s81, s81, s58
	s_add_i32 s83, s84, s83
	s_add_i32 s82, s86, s82
	s_mul_i32 s80, s80, s60
	s_lshl_b64 s[74:75], s[74:75], 1
	s_add_i32 s81, s83, s81
	s_add_i32 s83, s82, s80
	s_mul_i32 s72, s48, s72
	s_add_u32 s74, s20, s74
	s_addc_u32 s75, s21, s75
	s_lshl_b64 s[72:73], s[72:73], 1
	s_add_u32 s80, s20, s72
	s_addc_u32 s82, s21, s73
	s_lshl_b64 s[72:73], s[78:79], 1
	;; [unrolled: 3-line block ×4, first 2 shown]
	s_add_u32 s74, s74, s72
	s_addc_u32 s75, s75, s73
	s_add_u32 s72, s76, s72
	v_lshl_add_u64 v[10:11], s[74:75], 0, v[4:5]
	s_addc_u32 s73, s77, s73
	global_load_ushort v13, v[10:11], off
	v_lshl_add_u64 v[10:11], s[72:73], 0, v[4:5]
	global_load_ushort v16, v[10:11], off
	s_add_u32 s63, s63, s67
	s_addc_u32 s64, s64, s68
	s_add_u32 s65, s65, s38
	s_addc_u32 s66, s66, s39
	s_add_u32 s40, s40, -2
	s_mul_i32 s80, s71, s58
	s_addc_u32 s41, s41, -1
	s_mul_i32 s82, s85, s60
	v_lshl_add_u64 v[10:11], s[80:81], 2, v[2:3]
	s_cmp_lg_u64 s[40:41], 0
	v_lshl_add_u64 v[14:15], s[82:83], 2, v[2:3]
	s_waitcnt vmcnt(1)
	v_cvt_f32_f16_e32 v13, v13
	s_waitcnt vmcnt(0)
	v_cvt_f32_f16_e32 v16, v16
	global_store_dword v[10:11], v13, off
	global_store_dword v[14:15], v16, off
	s_cbranch_scc1 .LBB54_10
; %bb.11:                               ;   in Loop: Header=BB54_4 Depth=1
	s_mul_i32 s38, s37, s6
	s_mul_hi_u32 s39, s36, s6
	s_add_i32 s39, s39, s38
	s_mul_i32 s38, s36, s6
	s_add_u32 s38, s38, s4
	s_addc_u32 s39, s39, 0
	s_cmp_lg_u64 s[2:3], s[36:37]
	s_cselect_b64 s[36:37], -1, 0
.LBB54_12:                              ;   in Loop: Header=BB54_4 Depth=1
	s_and_b64 vcc, exec, s[36:37]
	s_cbranch_vccz .LBB54_3
; %bb.13:                               ;   in Loop: Header=BB54_4 Depth=1
	s_mul_i32 s2, s18, s39
	s_mul_hi_u32 s3, s18, s38
	s_add_i32 s2, s3, s2
	s_mul_i32 s3, s19, s38
	s_add_i32 s2, s2, s3
	s_mul_i32 s3, s18, s38
	s_add_u32 s3, s30, s3
	s_addc_u32 s2, s31, s2
	s_mul_i32 s36, s23, s3
	s_mul_i32 s2, s22, s2
	v_mov_b32_e32 v10, s3
	s_add_i32 s36, s2, s36
	v_mad_u64_u32 v[10:11], s[2:3], s22, v10, v[2:3]
	s_mul_i32 s2, s17, s6
	s_mul_hi_u32 s3, s16, s6
	v_add_u32_e32 v11, s36, v11
	s_add_i32 s3, s3, s2
	s_mul_i32 s2, s16, s6
.LBB54_14:                              ;   Parent Loop BB54_4 Depth=1
                                        ; =>  This Inner Loop Header: Depth=2
	s_mul_hi_u32 s36, s8, s38
	s_add_i32 s36, s38, s36
	s_lshr_b32 s36, s36, s9
	s_mul_i32 s37, s62, s36
	s_mul_i32 s40, s36, s29
	s_mul_hi_u32 s41, s36, s28
	s_add_i32 s63, s38, s37
	s_mul_i32 s36, s36, s28
	s_add_i32 s37, s41, s40
	s_mul_i32 s41, s63, s15
	s_mul_hi_u32 s64, s63, s14
	s_lshl_b64 s[36:37], s[36:37], 1
	s_add_i32 s41, s64, s41
	s_mul_i32 s40, s63, s14
	s_add_u32 s63, s20, s36
	s_addc_u32 s64, s21, s37
	s_lshl_b64 s[36:37], s[40:41], 1
	s_add_u32 s40, s63, s36
	s_addc_u32 s41, s64, s37
	s_lshl_b64 s[36:37], s[34:35], 1
	s_add_u32 s36, s40, s36
	s_addc_u32 s37, s41, s37
	v_lshl_add_u64 v[14:15], v[0:1], 1, s[36:37]
	global_load_ushort v13, v[14:15], off
	s_add_u32 s38, s38, s6
	s_addc_u32 s39, s39, 0
	v_cmp_ge_i64_e32 vcc, s[38:39], v[8:9]
	s_and_b64 vcc, exec, vcc
	s_waitcnt vmcnt(0)
	v_cvt_f32_f16_e32 v13, v13
	global_store_dword v[10:11], v13, off
	v_lshl_add_u64 v[10:11], v[10:11], 0, s[2:3]
	s_cbranch_vccz .LBB54_14
	s_branch .LBB54_3
.LBB54_15:                              ;   in Loop: Header=BB54_4 Depth=1
                                        ; implicit-def: $sgpr36_sgpr37
	s_branch .LBB54_7
.LBB54_16:
	s_endpgm
	.section	.rodata,"a",@progbits
	.p2align	6, 0x0
	.amdhsa_kernel _ZL13convert_unaryI6__halffEvPKvPT0_lll15HIP_vector_typeIjLj3EElll
		.amdhsa_group_segment_fixed_size 0
		.amdhsa_private_segment_fixed_size 0
		.amdhsa_kernarg_size 336
		.amdhsa_user_sgpr_count 2
		.amdhsa_user_sgpr_dispatch_ptr 0
		.amdhsa_user_sgpr_queue_ptr 0
		.amdhsa_user_sgpr_kernarg_segment_ptr 1
		.amdhsa_user_sgpr_dispatch_id 0
		.amdhsa_user_sgpr_kernarg_preload_length 0
		.amdhsa_user_sgpr_kernarg_preload_offset 0
		.amdhsa_user_sgpr_private_segment_size 0
		.amdhsa_uses_dynamic_stack 0
		.amdhsa_enable_private_segment 0
		.amdhsa_system_sgpr_workgroup_id_x 1
		.amdhsa_system_sgpr_workgroup_id_y 1
		.amdhsa_system_sgpr_workgroup_id_z 1
		.amdhsa_system_sgpr_workgroup_info 0
		.amdhsa_system_vgpr_workitem_id 0
		.amdhsa_next_free_vgpr 17
		.amdhsa_next_free_sgpr 87
		.amdhsa_accum_offset 20
		.amdhsa_reserve_vcc 1
		.amdhsa_float_round_mode_32 0
		.amdhsa_float_round_mode_16_64 0
		.amdhsa_float_denorm_mode_32 3
		.amdhsa_float_denorm_mode_16_64 3
		.amdhsa_dx10_clamp 1
		.amdhsa_ieee_mode 1
		.amdhsa_fp16_overflow 0
		.amdhsa_tg_split 0
		.amdhsa_exception_fp_ieee_invalid_op 0
		.amdhsa_exception_fp_denorm_src 0
		.amdhsa_exception_fp_ieee_div_zero 0
		.amdhsa_exception_fp_ieee_overflow 0
		.amdhsa_exception_fp_ieee_underflow 0
		.amdhsa_exception_fp_ieee_inexact 0
		.amdhsa_exception_int_div_zero 0
	.end_amdhsa_kernel
	.section	.text._ZL13convert_unaryI6__halffEvPKvPT0_lll15HIP_vector_typeIjLj3EElll,"axG",@progbits,_ZL13convert_unaryI6__halffEvPKvPT0_lll15HIP_vector_typeIjLj3EElll,comdat
.Lfunc_end54:
	.size	_ZL13convert_unaryI6__halffEvPKvPT0_lll15HIP_vector_typeIjLj3EElll, .Lfunc_end54-_ZL13convert_unaryI6__halffEvPKvPT0_lll15HIP_vector_typeIjLj3EElll
                                        ; -- End function
	.section	.AMDGPU.csdata,"",@progbits
; Kernel info:
; codeLenInByte = 1752
; NumSgprs: 93
; NumVgprs: 17
; NumAgprs: 0
; TotalNumVgprs: 17
; ScratchSize: 0
; MemoryBound: 0
; FloatMode: 240
; IeeeMode: 1
; LDSByteSize: 0 bytes/workgroup (compile time only)
; SGPRBlocks: 11
; VGPRBlocks: 2
; NumSGPRsForWavesPerEU: 93
; NumVGPRsForWavesPerEU: 17
; AccumOffset: 20
; Occupancy: 8
; WaveLimiterHint : 0
; COMPUTE_PGM_RSRC2:SCRATCH_EN: 0
; COMPUTE_PGM_RSRC2:USER_SGPR: 2
; COMPUTE_PGM_RSRC2:TRAP_HANDLER: 0
; COMPUTE_PGM_RSRC2:TGID_X_EN: 1
; COMPUTE_PGM_RSRC2:TGID_Y_EN: 1
; COMPUTE_PGM_RSRC2:TGID_Z_EN: 1
; COMPUTE_PGM_RSRC2:TIDIG_COMP_CNT: 0
; COMPUTE_PGM_RSRC3_GFX90A:ACCUM_OFFSET: 4
; COMPUTE_PGM_RSRC3_GFX90A:TG_SPLIT: 0
	.section	.text._ZL16dequantize_blockILi128ELi1EXadL_ZL15dequantize_q1_0PKvliR15HIP_vector_typeIfLj2EEEEfEvS1_PT2_lllS2_IjLj3EElll,"axG",@progbits,_ZL16dequantize_blockILi128ELi1EXadL_ZL15dequantize_q1_0PKvliR15HIP_vector_typeIfLj2EEEEfEvS1_PT2_lllS2_IjLj3EElll,comdat
	.globl	_ZL16dequantize_blockILi128ELi1EXadL_ZL15dequantize_q1_0PKvliR15HIP_vector_typeIfLj2EEEEfEvS1_PT2_lllS2_IjLj3EElll ; -- Begin function _ZL16dequantize_blockILi128ELi1EXadL_ZL15dequantize_q1_0PKvliR15HIP_vector_typeIfLj2EEEEfEvS1_PT2_lllS2_IjLj3EElll
	.p2align	8
	.type	_ZL16dequantize_blockILi128ELi1EXadL_ZL15dequantize_q1_0PKvliR15HIP_vector_typeIfLj2EEEEfEvS1_PT2_lllS2_IjLj3EElll,@function
_ZL16dequantize_blockILi128ELi1EXadL_ZL15dequantize_q1_0PKvliR15HIP_vector_typeIfLj2EEEEfEvS1_PT2_lllS2_IjLj3EElll: ; @_ZL16dequantize_blockILi128ELi1EXadL_ZL15dequantize_q1_0PKvliR15HIP_vector_typeIfLj2EEEEfEvS1_PT2_lllS2_IjLj3EElll
; %bb.0:
	s_mov_b32 s6, s3
	s_load_dword s3, s[0:1], 0x5c
	s_load_dwordx4 s[20:23], s[0:1], 0x10
	s_add_u32 s24, s0, 0x50
	s_addc_u32 s25, s1, 0
	v_mov_b32_e32 v1, 0
	s_waitcnt lgkmcnt(0)
	s_and_b32 s5, s3, 0xffff
	v_mov_b32_e32 v2, s2
	v_mad_u64_u32 v[4:5], s[8:9], s5, v2, v[0:1]
	v_lshlrev_b64 v[8:9], 1, v[4:5]
	v_cmp_gt_i64_e32 vcc, s[20:21], v[8:9]
	s_and_saveexec_b64 s[8:9], vcc
	s_cbranch_execz .LBB55_7
; %bb.1:
	s_load_dwordx2 s[28:29], s[0:1], 0x20
	s_mov_b32 s7, 0
	v_mov_b64_e32 v[2:3], s[22:23]
	v_cmp_ge_i64_e32 vcc, s[6:7], v[2:3]
	s_cbranch_vccnz .LBB55_7
; %bb.2:
	s_load_dwordx4 s[16:19], s[0:1], 0x0
	s_load_dwordx8 s[8:15], s[0:1], 0x28
	s_load_dwordx2 s[26:27], s[0:1], 0x48
	s_mul_i32 s0, s23, s4
	s_mul_hi_u32 s1, s22, s4
	s_add_i32 s1, s1, s0
	s_mul_i32 s0, s22, s4
	s_waitcnt lgkmcnt(0)
	v_mov_b64_e32 v[2:3], s[28:29]
	s_load_dword s28, s[24:25], 0x4
	s_add_u32 s0, s0, s6
	s_addc_u32 s1, s1, 0
	s_mul_i32 s1, s20, s1
	s_mul_hi_u32 s11, s20, s0
	v_lshrrev_b64 v[4:5], 6, v[4:5]
	s_add_i32 s1, s11, s1
	s_mul_i32 s11, s21, s0
	s_add_i32 s1, s1, s11
	s_mul_i32 s0, s20, s0
	v_lshlrev_b64 v[10:11], 9, v[4:5]
	v_lshl_add_u64 v[10:11], s[0:1], 2, v[10:11]
	v_mov_b32_e32 v9, s3
	s_waitcnt lgkmcnt(0)
	s_mul_i32 s0, s21, s28
	s_mul_hi_u32 s1, s20, s28
	v_mad_legacy_u16 v0, s2, v9, v0
	s_add_i32 s1, s1, s0
	s_mul_i32 s0, s20, s28
	s_mov_b32 s5, s7
	v_mov_b32_e32 v7, 0
	v_and_b32_e32 v0, 63, v0
	s_lshl_b64 s[2:3], s[0:1], 2
	s_mul_i32 s0, s22, s21
	s_mul_hi_u32 s1, s22, s20
	v_lshlrev_b32_e32 v12, 3, v0
	v_mov_b32_e32 v13, v7
	s_add_i32 s0, s1, s0
	s_mul_i32 s1, s23, s20
	v_cmp_lt_i64_e32 vcc, s[4:5], v[2:3]
	v_bfe_u32 v6, v8, 3, 4
	v_and_b32_e32 v8, 6, v8
	v_lshl_add_u64 v[10:11], v[10:11], 0, v[12:13]
	s_add_i32 s1, s0, s1
	s_mul_i32 s0, s22, s20
	v_cndmask_b32_e64 v0, 0, 1, vcc
	v_or_b32_e32 v1, 1, v8
	v_lshl_add_u64 v[10:11], s[18:19], 0, v[10:11]
	s_lshl_b64 s[18:19], s[0:1], 2
	s_sub_i32 s29, 0, s10
	v_mov_b64_e32 v[12:13], s[22:23]
	v_cmp_ne_u32_e64 s[0:1], 1, v0
	s_branch .LBB55_4
.LBB55_3:                               ;   in Loop: Header=BB55_4 Depth=1
	s_add_u32 s6, s6, s28
	s_addc_u32 s7, s7, 0
	v_cmp_ge_i64_e32 vcc, s[6:7], v[12:13]
	v_lshl_add_u64 v[10:11], v[10:11], 0, s[2:3]
	s_cbranch_vccnz .LBB55_7
.LBB55_4:                               ; =>This Loop Header: Depth=1
                                        ;     Child Loop BB55_6 Depth 2
	s_and_b64 vcc, exec, s[0:1]
	s_cbranch_vccnz .LBB55_3
; %bb.5:                                ;   in Loop: Header=BB55_4 Depth=1
	s_load_dword s22, s[24:25], 0x8
	s_mul_i32 s10, s6, s13
	s_mul_hi_u32 s11, s6, s12
	s_add_i32 s10, s11, s10
	s_mul_i32 s11, s7, s12
	s_add_i32 s20, s10, s11
	s_waitcnt lgkmcnt(0)
	s_mul_i32 s10, s19, s22
	s_mul_hi_u32 s11, s18, s22
	s_mul_i32 s23, s6, s12
	s_add_i32 s11, s11, s10
	s_mul_i32 s10, s18, s22
	s_mul_i32 s30, s20, 18
	v_mov_b64_e32 v[14:15], v[10:11]
	s_mov_b64 s[20:21], s[4:5]
.LBB55_6:                               ;   Parent Loop BB55_4 Depth=1
                                        ; =>  This Inner Loop Header: Depth=2
	s_mul_hi_u32 s31, s8, s20
	s_add_i32 s31, s20, s31
	s_lshr_b32 s31, s31, s9
	s_mul_i32 s35, s29, s31
	s_mul_i32 s36, s31, s27
	s_mul_hi_u32 s37, s31, s26
	s_mul_i32 s31, s31, s26
	s_add_i32 s35, s20, s35
	s_add_i32 s36, s37, s36
	s_mul_hi_u32 s37, s31, 18
	s_mul_i32 s38, s35, s15
	s_mul_hi_u32 s39, s35, s14
	s_mul_i32 s36, s36, 18
	s_mul_i32 s31, s31, 18
	;; [unrolled: 1-line block ×3, first 2 shown]
	s_add_i32 s38, s39, s38
	s_add_i32 s37, s37, s36
	s_mul_hi_u32 s36, s35, 18
	s_add_u32 s31, s16, s31
	s_mul_i32 s38, s38, 18
	s_mul_i32 s35, s35, 18
	s_addc_u32 s37, s17, s37
	s_add_i32 s36, s36, s38
	s_mul_hi_u32 s33, s23, 18
	s_add_u32 s31, s31, s35
	s_mul_i32 s34, s23, 18
	s_addc_u32 s35, s37, s36
	s_add_i32 s33, s33, s30
	s_add_u32 s34, s31, s34
	s_addc_u32 s35, s35, s33
	v_mad_u64_u32 v[16:17], s[34:35], v4, 18, s[34:35]
	v_mov_b32_e32 v0, v17
	v_mad_u64_u32 v[18:19], s[34:35], v5, 18, v[0:1]
	v_mov_b32_e32 v17, v18
	v_lshl_add_u64 v[18:19], v[16:17], 0, v[6:7]
	global_load_ushort v0, v[16:17], off
	global_load_ubyte v9, v[18:19], off offset:2
	s_add_u32 s20, s20, s22
	s_addc_u32 s21, s21, 0
	v_cmp_ge_i64_e32 vcc, s[20:21], v[2:3]
	s_and_b64 vcc, exec, vcc
	s_waitcnt vmcnt(1)
	v_cvt_f32_f16_e32 v0, v0
	s_waitcnt vmcnt(0)
	v_lshrrev_b32_e32 v16, v1, v9
	v_lshrrev_b32_e32 v9, v8, v9
	v_lshlrev_b32_e32 v9, 1, v9
	v_lshlrev_b32_e32 v16, 1, v16
	v_and_b32_e32 v16, 2, v16
	v_and_b32_e32 v9, 2, v9
	v_add_u32_e32 v9, -1, v9
	v_add_u32_e32 v16, -1, v16
	v_cvt_f32_i32_e32 v17, v16
	v_cvt_f32_i32_e32 v16, v9
	v_pk_mul_f32 v[16:17], v[0:1], v[16:17] op_sel_hi:[0,1]
	global_store_dwordx2 v[14:15], v[16:17], off
	v_lshl_add_u64 v[14:15], v[14:15], 0, s[10:11]
	s_cbranch_vccz .LBB55_6
	s_branch .LBB55_3
.LBB55_7:
	s_endpgm
	.section	.rodata,"a",@progbits
	.p2align	6, 0x0
	.amdhsa_kernel _ZL16dequantize_blockILi128ELi1EXadL_ZL15dequantize_q1_0PKvliR15HIP_vector_typeIfLj2EEEEfEvS1_PT2_lllS2_IjLj3EElll
		.amdhsa_group_segment_fixed_size 0
		.amdhsa_private_segment_fixed_size 0
		.amdhsa_kernarg_size 336
		.amdhsa_user_sgpr_count 2
		.amdhsa_user_sgpr_dispatch_ptr 0
		.amdhsa_user_sgpr_queue_ptr 0
		.amdhsa_user_sgpr_kernarg_segment_ptr 1
		.amdhsa_user_sgpr_dispatch_id 0
		.amdhsa_user_sgpr_kernarg_preload_length 0
		.amdhsa_user_sgpr_kernarg_preload_offset 0
		.amdhsa_user_sgpr_private_segment_size 0
		.amdhsa_uses_dynamic_stack 0
		.amdhsa_enable_private_segment 0
		.amdhsa_system_sgpr_workgroup_id_x 1
		.amdhsa_system_sgpr_workgroup_id_y 1
		.amdhsa_system_sgpr_workgroup_id_z 1
		.amdhsa_system_sgpr_workgroup_info 0
		.amdhsa_system_vgpr_workitem_id 0
		.amdhsa_next_free_vgpr 20
		.amdhsa_next_free_sgpr 40
		.amdhsa_accum_offset 20
		.amdhsa_reserve_vcc 1
		.amdhsa_float_round_mode_32 0
		.amdhsa_float_round_mode_16_64 0
		.amdhsa_float_denorm_mode_32 3
		.amdhsa_float_denorm_mode_16_64 3
		.amdhsa_dx10_clamp 1
		.amdhsa_ieee_mode 1
		.amdhsa_fp16_overflow 0
		.amdhsa_tg_split 0
		.amdhsa_exception_fp_ieee_invalid_op 0
		.amdhsa_exception_fp_denorm_src 0
		.amdhsa_exception_fp_ieee_div_zero 0
		.amdhsa_exception_fp_ieee_overflow 0
		.amdhsa_exception_fp_ieee_underflow 0
		.amdhsa_exception_fp_ieee_inexact 0
		.amdhsa_exception_int_div_zero 0
	.end_amdhsa_kernel
	.section	.text._ZL16dequantize_blockILi128ELi1EXadL_ZL15dequantize_q1_0PKvliR15HIP_vector_typeIfLj2EEEEfEvS1_PT2_lllS2_IjLj3EElll,"axG",@progbits,_ZL16dequantize_blockILi128ELi1EXadL_ZL15dequantize_q1_0PKvliR15HIP_vector_typeIfLj2EEEEfEvS1_PT2_lllS2_IjLj3EElll,comdat
.Lfunc_end55:
	.size	_ZL16dequantize_blockILi128ELi1EXadL_ZL15dequantize_q1_0PKvliR15HIP_vector_typeIfLj2EEEEfEvS1_PT2_lllS2_IjLj3EElll, .Lfunc_end55-_ZL16dequantize_blockILi128ELi1EXadL_ZL15dequantize_q1_0PKvliR15HIP_vector_typeIfLj2EEEEfEvS1_PT2_lllS2_IjLj3EElll
                                        ; -- End function
	.section	.AMDGPU.csdata,"",@progbits
; Kernel info:
; codeLenInByte = 732
; NumSgprs: 46
; NumVgprs: 20
; NumAgprs: 0
; TotalNumVgprs: 20
; ScratchSize: 0
; MemoryBound: 0
; FloatMode: 240
; IeeeMode: 1
; LDSByteSize: 0 bytes/workgroup (compile time only)
; SGPRBlocks: 5
; VGPRBlocks: 2
; NumSGPRsForWavesPerEU: 46
; NumVGPRsForWavesPerEU: 20
; AccumOffset: 20
; Occupancy: 8
; WaveLimiterHint : 0
; COMPUTE_PGM_RSRC2:SCRATCH_EN: 0
; COMPUTE_PGM_RSRC2:USER_SGPR: 2
; COMPUTE_PGM_RSRC2:TRAP_HANDLER: 0
; COMPUTE_PGM_RSRC2:TGID_X_EN: 1
; COMPUTE_PGM_RSRC2:TGID_Y_EN: 1
; COMPUTE_PGM_RSRC2:TGID_Z_EN: 1
; COMPUTE_PGM_RSRC2:TIDIG_COMP_CNT: 0
; COMPUTE_PGM_RSRC3_GFX90A:ACCUM_OFFSET: 4
; COMPUTE_PGM_RSRC3_GFX90A:TG_SPLIT: 0
	.section	.text._ZL16dequantize_blockILi32ELi2EXadL_ZL15dequantize_q4_0PKvliR15HIP_vector_typeIfLj2EEEEfEvS1_PT2_lllS2_IjLj3EElll,"axG",@progbits,_ZL16dequantize_blockILi32ELi2EXadL_ZL15dequantize_q4_0PKvliR15HIP_vector_typeIfLj2EEEEfEvS1_PT2_lllS2_IjLj3EElll,comdat
	.globl	_ZL16dequantize_blockILi32ELi2EXadL_ZL15dequantize_q4_0PKvliR15HIP_vector_typeIfLj2EEEEfEvS1_PT2_lllS2_IjLj3EElll ; -- Begin function _ZL16dequantize_blockILi32ELi2EXadL_ZL15dequantize_q4_0PKvliR15HIP_vector_typeIfLj2EEEEfEvS1_PT2_lllS2_IjLj3EElll
	.p2align	8
	.type	_ZL16dequantize_blockILi32ELi2EXadL_ZL15dequantize_q4_0PKvliR15HIP_vector_typeIfLj2EEEEfEvS1_PT2_lllS2_IjLj3EElll,@function
_ZL16dequantize_blockILi32ELi2EXadL_ZL15dequantize_q4_0PKvliR15HIP_vector_typeIfLj2EEEEfEvS1_PT2_lllS2_IjLj3EElll: ; @_ZL16dequantize_blockILi32ELi2EXadL_ZL15dequantize_q4_0PKvliR15HIP_vector_typeIfLj2EEEEfEvS1_PT2_lllS2_IjLj3EElll
; %bb.0:
	s_mov_b32 s6, s3
	s_load_dword s3, s[0:1], 0x5c
	s_load_dwordx4 s[20:23], s[0:1], 0x10
	s_add_u32 s24, s0, 0x50
	s_addc_u32 s25, s1, 0
	v_mov_b32_e32 v1, 0
	s_waitcnt lgkmcnt(0)
	s_and_b32 s3, s3, 0xffff
	v_mov_b32_e32 v2, s2
	v_mad_u64_u32 v[4:5], s[2:3], s3, v2, v[0:1]
	v_lshlrev_b64 v[0:1], 1, v[4:5]
	v_cmp_gt_i64_e32 vcc, s[20:21], v[0:1]
	s_and_saveexec_b64 s[2:3], vcc
	s_cbranch_execz .LBB56_7
; %bb.1:
	s_load_dwordx2 s[26:27], s[0:1], 0x20
	s_mov_b32 s7, 0
	v_mov_b64_e32 v[0:1], s[22:23]
	v_cmp_ge_i64_e32 vcc, s[6:7], v[0:1]
	s_cbranch_vccnz .LBB56_7
; %bb.2:
	s_load_dwordx4 s[16:19], s[0:1], 0x0
	s_load_dwordx8 s[8:15], s[0:1], 0x28
	s_load_dwordx2 s[2:3], s[0:1], 0x48
	s_mul_i32 s0, s23, s4
	s_mul_hi_u32 s1, s22, s4
	s_add_i32 s1, s1, s0
	s_mul_i32 s0, s22, s4
	s_waitcnt lgkmcnt(0)
	v_mov_b64_e32 v[0:1], s[26:27]
	s_load_dword s26, s[24:25], 0x4
	s_add_u32 s0, s0, s6
	s_addc_u32 s1, s1, 0
	s_mul_i32 s1, s20, s1
	s_mul_hi_u32 s11, s20, s0
	v_lshrrev_b64 v[2:3], 4, v[4:5]
	s_add_i32 s1, s11, s1
	s_mul_i32 s11, s21, s0
	v_and_b32_e32 v4, 15, v4
	v_mov_b32_e32 v5, 0
	s_add_i32 s1, s1, s11
	s_mul_i32 s0, s20, s0
	v_lshlrev_b64 v[6:7], 7, v[2:3]
	v_lshl_add_u64 v[6:7], s[0:1], 2, v[6:7]
	v_lshlrev_b32_e32 v8, 2, v4
	v_mov_b32_e32 v9, v5
	s_waitcnt lgkmcnt(0)
	s_mul_i32 s0, s21, s26
	s_mul_hi_u32 s1, s20, s26
	v_lshl_add_u64 v[6:7], v[6:7], 0, v[8:9]
	s_add_i32 s1, s1, s0
	s_mul_i32 s0, s20, s26
	s_mov_b32 s5, s7
	v_lshl_add_u64 v[6:7], v[6:7], 0, s[18:19]
	s_lshl_b64 s[18:19], s[0:1], 2
	s_mul_i32 s0, s22, s21
	s_mul_hi_u32 s1, s22, s20
	s_add_i32 s0, s1, s0
	s_mul_i32 s1, s23, s20
	v_cmp_lt_i64_e32 vcc, s[4:5], v[0:1]
	s_add_i32 s1, s0, s1
	s_mul_i32 s0, s22, s20
	v_cndmask_b32_e64 v10, 0, 1, vcc
	v_lshl_add_u64 v[6:7], v[6:7], 0, 64
	s_lshl_b64 s[20:21], s[0:1], 2
	s_sub_i32 s27, 0, s10
	v_mov_b64_e32 v[8:9], s[22:23]
	v_cmp_ne_u32_e64 s[0:1], 1, v10
	s_branch .LBB56_4
.LBB56_3:                               ;   in Loop: Header=BB56_4 Depth=1
	s_add_u32 s6, s6, s26
	s_addc_u32 s7, s7, 0
	v_cmp_ge_i64_e32 vcc, s[6:7], v[8:9]
	v_lshl_add_u64 v[6:7], v[6:7], 0, s[18:19]
	s_cbranch_vccnz .LBB56_7
.LBB56_4:                               ; =>This Loop Header: Depth=1
                                        ;     Child Loop BB56_6 Depth 2
	s_and_b64 vcc, exec, s[0:1]
	s_cbranch_vccnz .LBB56_3
; %bb.5:                                ;   in Loop: Header=BB56_4 Depth=1
	s_load_dword s28, s[24:25], 0x8
	s_mul_i32 s10, s6, s13
	s_mul_hi_u32 s11, s6, s12
	s_add_i32 s10, s11, s10
	s_mul_i32 s11, s7, s12
	s_add_i32 s22, s10, s11
	s_mul_i32 s23, s6, s12
	s_waitcnt lgkmcnt(0)
	s_mul_i32 s10, s21, s28
	s_mul_hi_u32 s11, s20, s28
	s_mul_i32 s22, s22, 18
	s_mul_hi_u32 s29, s23, 18
	s_add_i32 s11, s11, s10
	s_mul_i32 s10, s20, s28
	s_add_i32 s29, s29, s22
	s_mul_i32 s30, s23, 18
	v_mov_b64_e32 v[10:11], v[6:7]
	s_mov_b64 s[22:23], s[4:5]
.LBB56_6:                               ;   Parent Loop BB56_4 Depth=1
                                        ; =>  This Inner Loop Header: Depth=2
	s_mul_hi_u32 s31, s8, s22
	s_add_i32 s31, s22, s31
	s_lshr_b32 s31, s31, s9
	s_mul_i32 s33, s27, s31
	s_mul_i32 s34, s31, s3
	s_mul_hi_u32 s35, s31, s2
	s_mul_i32 s31, s31, s2
	s_add_i32 s33, s22, s33
	s_add_i32 s34, s35, s34
	s_mul_hi_u32 s35, s31, 18
	s_mul_i32 s36, s33, s15
	s_mul_hi_u32 s37, s33, s14
	s_mul_i32 s34, s34, 18
	s_mul_i32 s31, s31, 18
	;; [unrolled: 1-line block ×3, first 2 shown]
	s_add_i32 s36, s37, s36
	s_add_i32 s35, s35, s34
	s_mul_hi_u32 s34, s33, 18
	s_add_u32 s31, s16, s31
	s_mul_i32 s36, s36, 18
	s_mul_i32 s33, s33, 18
	s_addc_u32 s35, s17, s35
	s_add_i32 s34, s34, s36
	s_add_u32 s31, s31, s33
	s_addc_u32 s33, s35, s34
	s_add_u32 s34, s31, s30
	s_addc_u32 s35, s33, s29
	v_mad_u64_u32 v[12:13], s[34:35], v2, 18, s[34:35]
	v_mov_b32_e32 v14, v13
	v_mad_u64_u32 v[14:15], s[34:35], v3, 18, v[14:15]
	v_mov_b32_e32 v13, v14
	v_lshl_add_u64 v[14:15], v[12:13], 0, v[4:5]
	global_load_ushort v16, v[12:13], off
	global_load_ubyte v17, v[14:15], off offset:2
	s_add_u32 s22, s22, s28
	s_addc_u32 s23, s23, 0
	v_cmp_ge_i64_e32 vcc, s[22:23], v[0:1]
	s_and_b64 vcc, exec, vcc
	s_waitcnt vmcnt(1)
	v_cvt_f32_f16_e32 v12, v16
	s_waitcnt vmcnt(0)
	v_and_b32_e32 v13, 15, v17
	v_lshrrev_b32_e32 v14, 4, v17
	v_add_u32_e32 v13, -8, v13
	v_add_u32_e32 v14, -8, v14
	v_cvt_f32_i32_e32 v13, v13
	v_cvt_f32_i32_e32 v14, v14
	v_mul_f32_e32 v13, v12, v13
	v_mul_f32_e32 v12, v12, v14
	global_store_dword v[10:11], v13, off offset:-64
	global_store_dword v[10:11], v12, off
	v_lshl_add_u64 v[10:11], v[10:11], 0, s[10:11]
	s_cbranch_vccz .LBB56_6
	s_branch .LBB56_3
.LBB56_7:
	s_endpgm
	.section	.rodata,"a",@progbits
	.p2align	6, 0x0
	.amdhsa_kernel _ZL16dequantize_blockILi32ELi2EXadL_ZL15dequantize_q4_0PKvliR15HIP_vector_typeIfLj2EEEEfEvS1_PT2_lllS2_IjLj3EElll
		.amdhsa_group_segment_fixed_size 0
		.amdhsa_private_segment_fixed_size 0
		.amdhsa_kernarg_size 336
		.amdhsa_user_sgpr_count 2
		.amdhsa_user_sgpr_dispatch_ptr 0
		.amdhsa_user_sgpr_queue_ptr 0
		.amdhsa_user_sgpr_kernarg_segment_ptr 1
		.amdhsa_user_sgpr_dispatch_id 0
		.amdhsa_user_sgpr_kernarg_preload_length 0
		.amdhsa_user_sgpr_kernarg_preload_offset 0
		.amdhsa_user_sgpr_private_segment_size 0
		.amdhsa_uses_dynamic_stack 0
		.amdhsa_enable_private_segment 0
		.amdhsa_system_sgpr_workgroup_id_x 1
		.amdhsa_system_sgpr_workgroup_id_y 1
		.amdhsa_system_sgpr_workgroup_id_z 1
		.amdhsa_system_sgpr_workgroup_info 0
		.amdhsa_system_vgpr_workitem_id 0
		.amdhsa_next_free_vgpr 18
		.amdhsa_next_free_sgpr 38
		.amdhsa_accum_offset 20
		.amdhsa_reserve_vcc 1
		.amdhsa_float_round_mode_32 0
		.amdhsa_float_round_mode_16_64 0
		.amdhsa_float_denorm_mode_32 3
		.amdhsa_float_denorm_mode_16_64 3
		.amdhsa_dx10_clamp 1
		.amdhsa_ieee_mode 1
		.amdhsa_fp16_overflow 0
		.amdhsa_tg_split 0
		.amdhsa_exception_fp_ieee_invalid_op 0
		.amdhsa_exception_fp_denorm_src 0
		.amdhsa_exception_fp_ieee_div_zero 0
		.amdhsa_exception_fp_ieee_overflow 0
		.amdhsa_exception_fp_ieee_underflow 0
		.amdhsa_exception_fp_ieee_inexact 0
		.amdhsa_exception_int_div_zero 0
	.end_amdhsa_kernel
	.section	.text._ZL16dequantize_blockILi32ELi2EXadL_ZL15dequantize_q4_0PKvliR15HIP_vector_typeIfLj2EEEEfEvS1_PT2_lllS2_IjLj3EElll,"axG",@progbits,_ZL16dequantize_blockILi32ELi2EXadL_ZL15dequantize_q4_0PKvliR15HIP_vector_typeIfLj2EEEEfEvS1_PT2_lllS2_IjLj3EElll,comdat
.Lfunc_end56:
	.size	_ZL16dequantize_blockILi32ELi2EXadL_ZL15dequantize_q4_0PKvliR15HIP_vector_typeIfLj2EEEEfEvS1_PT2_lllS2_IjLj3EElll, .Lfunc_end56-_ZL16dequantize_blockILi32ELi2EXadL_ZL15dequantize_q4_0PKvliR15HIP_vector_typeIfLj2EEEEfEvS1_PT2_lllS2_IjLj3EElll
                                        ; -- End function
	.section	.AMDGPU.csdata,"",@progbits
; Kernel info:
; codeLenInByte = 704
; NumSgprs: 44
; NumVgprs: 18
; NumAgprs: 0
; TotalNumVgprs: 18
; ScratchSize: 0
; MemoryBound: 0
; FloatMode: 240
; IeeeMode: 1
; LDSByteSize: 0 bytes/workgroup (compile time only)
; SGPRBlocks: 5
; VGPRBlocks: 2
; NumSGPRsForWavesPerEU: 44
; NumVGPRsForWavesPerEU: 18
; AccumOffset: 20
; Occupancy: 8
; WaveLimiterHint : 0
; COMPUTE_PGM_RSRC2:SCRATCH_EN: 0
; COMPUTE_PGM_RSRC2:USER_SGPR: 2
; COMPUTE_PGM_RSRC2:TRAP_HANDLER: 0
; COMPUTE_PGM_RSRC2:TGID_X_EN: 1
; COMPUTE_PGM_RSRC2:TGID_Y_EN: 1
; COMPUTE_PGM_RSRC2:TGID_Z_EN: 1
; COMPUTE_PGM_RSRC2:TIDIG_COMP_CNT: 0
; COMPUTE_PGM_RSRC3_GFX90A:ACCUM_OFFSET: 4
; COMPUTE_PGM_RSRC3_GFX90A:TG_SPLIT: 0
	.section	.text._ZL16dequantize_blockILi32ELi2EXadL_ZL15dequantize_q4_1PKvliR15HIP_vector_typeIfLj2EEEEfEvS1_PT2_lllS2_IjLj3EElll,"axG",@progbits,_ZL16dequantize_blockILi32ELi2EXadL_ZL15dequantize_q4_1PKvliR15HIP_vector_typeIfLj2EEEEfEvS1_PT2_lllS2_IjLj3EElll,comdat
	.globl	_ZL16dequantize_blockILi32ELi2EXadL_ZL15dequantize_q4_1PKvliR15HIP_vector_typeIfLj2EEEEfEvS1_PT2_lllS2_IjLj3EElll ; -- Begin function _ZL16dequantize_blockILi32ELi2EXadL_ZL15dequantize_q4_1PKvliR15HIP_vector_typeIfLj2EEEEfEvS1_PT2_lllS2_IjLj3EElll
	.p2align	8
	.type	_ZL16dequantize_blockILi32ELi2EXadL_ZL15dequantize_q4_1PKvliR15HIP_vector_typeIfLj2EEEEfEvS1_PT2_lllS2_IjLj3EElll,@function
_ZL16dequantize_blockILi32ELi2EXadL_ZL15dequantize_q4_1PKvliR15HIP_vector_typeIfLj2EEEEfEvS1_PT2_lllS2_IjLj3EElll: ; @_ZL16dequantize_blockILi32ELi2EXadL_ZL15dequantize_q4_1PKvliR15HIP_vector_typeIfLj2EEEEfEvS1_PT2_lllS2_IjLj3EElll
; %bb.0:
	s_mov_b32 s6, s3
	s_load_dword s3, s[0:1], 0x5c
	s_load_dwordx4 s[20:23], s[0:1], 0x10
	s_add_u32 s24, s0, 0x50
	s_addc_u32 s25, s1, 0
	v_mov_b32_e32 v1, 0
	s_waitcnt lgkmcnt(0)
	s_and_b32 s3, s3, 0xffff
	v_mov_b32_e32 v2, s2
	v_mad_u64_u32 v[4:5], s[2:3], s3, v2, v[0:1]
	v_lshlrev_b64 v[0:1], 1, v[4:5]
	v_cmp_gt_i64_e32 vcc, s[20:21], v[0:1]
	s_and_saveexec_b64 s[2:3], vcc
	s_cbranch_execz .LBB57_7
; %bb.1:
	s_load_dwordx2 s[26:27], s[0:1], 0x20
	s_mov_b32 s7, 0
	v_mov_b64_e32 v[0:1], s[22:23]
	v_cmp_ge_i64_e32 vcc, s[6:7], v[0:1]
	s_cbranch_vccnz .LBB57_7
; %bb.2:
	s_load_dwordx4 s[16:19], s[0:1], 0x0
	s_load_dwordx8 s[8:15], s[0:1], 0x28
	s_load_dwordx2 s[2:3], s[0:1], 0x48
	s_mul_i32 s0, s23, s4
	s_mul_hi_u32 s1, s22, s4
	s_add_i32 s1, s1, s0
	s_mul_i32 s0, s22, s4
	s_waitcnt lgkmcnt(0)
	v_mov_b64_e32 v[0:1], s[26:27]
	s_load_dword s26, s[24:25], 0x4
	s_add_u32 s0, s0, s6
	s_addc_u32 s1, s1, 0
	s_mul_i32 s1, s20, s1
	s_mul_hi_u32 s11, s20, s0
	v_lshrrev_b64 v[2:3], 4, v[4:5]
	s_add_i32 s1, s11, s1
	s_mul_i32 s11, s21, s0
	v_and_b32_e32 v4, 15, v4
	v_mov_b32_e32 v5, 0
	s_add_i32 s1, s1, s11
	s_mul_i32 s0, s20, s0
	v_lshlrev_b64 v[6:7], 7, v[2:3]
	v_lshl_add_u64 v[6:7], s[0:1], 2, v[6:7]
	v_lshlrev_b32_e32 v8, 2, v4
	v_mov_b32_e32 v9, v5
	s_waitcnt lgkmcnt(0)
	s_mul_i32 s0, s21, s26
	s_mul_hi_u32 s1, s20, s26
	v_lshl_add_u64 v[6:7], v[6:7], 0, v[8:9]
	s_add_i32 s1, s1, s0
	s_mul_i32 s0, s20, s26
	s_mov_b32 s5, s7
	v_lshl_add_u64 v[6:7], v[6:7], 0, s[18:19]
	s_lshl_b64 s[18:19], s[0:1], 2
	s_mul_i32 s0, s22, s21
	s_mul_hi_u32 s1, s22, s20
	s_add_i32 s0, s1, s0
	s_mul_i32 s1, s23, s20
	v_cmp_lt_i64_e32 vcc, s[4:5], v[0:1]
	s_add_i32 s1, s0, s1
	s_mul_i32 s0, s22, s20
	v_cndmask_b32_e64 v10, 0, 1, vcc
	v_lshl_add_u64 v[6:7], v[6:7], 0, 64
	s_lshl_b64 s[20:21], s[0:1], 2
	s_sub_i32 s27, 0, s10
	v_mov_b64_e32 v[8:9], s[22:23]
	v_cmp_ne_u32_e64 s[0:1], 1, v10
	s_branch .LBB57_4
.LBB57_3:                               ;   in Loop: Header=BB57_4 Depth=1
	s_add_u32 s6, s6, s26
	s_addc_u32 s7, s7, 0
	v_cmp_ge_i64_e32 vcc, s[6:7], v[8:9]
	v_lshl_add_u64 v[6:7], v[6:7], 0, s[18:19]
	s_cbranch_vccnz .LBB57_7
.LBB57_4:                               ; =>This Loop Header: Depth=1
                                        ;     Child Loop BB57_6 Depth 2
	s_and_b64 vcc, exec, s[0:1]
	s_cbranch_vccnz .LBB57_3
; %bb.5:                                ;   in Loop: Header=BB57_4 Depth=1
	s_load_dword s28, s[24:25], 0x8
	s_mul_i32 s10, s6, s13
	s_mul_hi_u32 s11, s6, s12
	s_add_i32 s10, s11, s10
	s_mul_i32 s11, s7, s12
	s_add_i32 s22, s10, s11
	s_mul_i32 s23, s6, s12
	s_waitcnt lgkmcnt(0)
	s_mul_i32 s10, s21, s28
	s_mul_hi_u32 s11, s20, s28
	s_mul_i32 s22, s22, 20
	s_mul_hi_u32 s29, s23, 20
	s_add_i32 s11, s11, s10
	s_mul_i32 s10, s20, s28
	s_add_i32 s29, s29, s22
	s_mul_i32 s30, s23, 20
	v_mov_b64_e32 v[10:11], v[6:7]
	s_mov_b64 s[22:23], s[4:5]
.LBB57_6:                               ;   Parent Loop BB57_4 Depth=1
                                        ; =>  This Inner Loop Header: Depth=2
	s_mul_hi_u32 s31, s8, s22
	s_add_i32 s31, s22, s31
	s_lshr_b32 s31, s31, s9
	s_mul_i32 s33, s27, s31
	s_mul_i32 s34, s31, s3
	s_mul_hi_u32 s35, s31, s2
	s_mul_i32 s31, s31, s2
	s_add_i32 s33, s22, s33
	s_add_i32 s34, s35, s34
	s_mul_hi_u32 s35, s31, 20
	s_mul_i32 s36, s33, s15
	s_mul_hi_u32 s37, s33, s14
	s_mul_i32 s34, s34, 20
	s_mul_i32 s31, s31, 20
	;; [unrolled: 1-line block ×3, first 2 shown]
	s_add_i32 s36, s37, s36
	s_add_i32 s35, s35, s34
	s_mul_hi_u32 s34, s33, 20
	s_add_u32 s31, s16, s31
	s_mul_i32 s36, s36, 20
	s_mul_i32 s33, s33, 20
	s_addc_u32 s35, s17, s35
	s_add_i32 s34, s34, s36
	s_add_u32 s31, s31, s33
	s_addc_u32 s33, s35, s34
	s_add_u32 s34, s31, s30
	s_addc_u32 s35, s33, s29
	v_mad_u64_u32 v[12:13], s[34:35], v2, 20, s[34:35]
	v_mov_b32_e32 v14, v13
	v_mad_u64_u32 v[14:15], s[34:35], v3, 20, v[14:15]
	v_mov_b32_e32 v13, v14
	v_lshl_add_u64 v[14:15], v[12:13], 0, v[4:5]
	global_load_dword v16, v[12:13], off
	global_load_ubyte v17, v[14:15], off offset:4
	s_add_u32 s22, s22, s28
	s_addc_u32 s23, s23, 0
	v_cmp_ge_i64_e32 vcc, s[22:23], v[0:1]
	s_and_b64 vcc, exec, vcc
	s_waitcnt vmcnt(0)
	v_and_b32_e32 v12, 15, v17
	v_lshrrev_b32_e32 v13, 4, v17
	v_cvt_f32_ubyte0_e32 v12, v12
	v_cvt_f32_ubyte0_e32 v13, v13
	v_fma_mix_f32 v12, v16, v12, v16 op_sel:[0,0,1] op_sel_hi:[1,0,1]
	v_fma_mix_f32 v13, v16, v13, v16 op_sel:[0,0,1] op_sel_hi:[1,0,1]
	global_store_dword v[10:11], v12, off offset:-64
	global_store_dword v[10:11], v13, off
	v_lshl_add_u64 v[10:11], v[10:11], 0, s[10:11]
	s_cbranch_vccz .LBB57_6
	s_branch .LBB57_3
.LBB57_7:
	s_endpgm
	.section	.rodata,"a",@progbits
	.p2align	6, 0x0
	.amdhsa_kernel _ZL16dequantize_blockILi32ELi2EXadL_ZL15dequantize_q4_1PKvliR15HIP_vector_typeIfLj2EEEEfEvS1_PT2_lllS2_IjLj3EElll
		.amdhsa_group_segment_fixed_size 0
		.amdhsa_private_segment_fixed_size 0
		.amdhsa_kernarg_size 336
		.amdhsa_user_sgpr_count 2
		.amdhsa_user_sgpr_dispatch_ptr 0
		.amdhsa_user_sgpr_queue_ptr 0
		.amdhsa_user_sgpr_kernarg_segment_ptr 1
		.amdhsa_user_sgpr_dispatch_id 0
		.amdhsa_user_sgpr_kernarg_preload_length 0
		.amdhsa_user_sgpr_kernarg_preload_offset 0
		.amdhsa_user_sgpr_private_segment_size 0
		.amdhsa_uses_dynamic_stack 0
		.amdhsa_enable_private_segment 0
		.amdhsa_system_sgpr_workgroup_id_x 1
		.amdhsa_system_sgpr_workgroup_id_y 1
		.amdhsa_system_sgpr_workgroup_id_z 1
		.amdhsa_system_sgpr_workgroup_info 0
		.amdhsa_system_vgpr_workitem_id 0
		.amdhsa_next_free_vgpr 18
		.amdhsa_next_free_sgpr 38
		.amdhsa_accum_offset 20
		.amdhsa_reserve_vcc 1
		.amdhsa_float_round_mode_32 0
		.amdhsa_float_round_mode_16_64 0
		.amdhsa_float_denorm_mode_32 3
		.amdhsa_float_denorm_mode_16_64 3
		.amdhsa_dx10_clamp 1
		.amdhsa_ieee_mode 1
		.amdhsa_fp16_overflow 0
		.amdhsa_tg_split 0
		.amdhsa_exception_fp_ieee_invalid_op 0
		.amdhsa_exception_fp_denorm_src 0
		.amdhsa_exception_fp_ieee_div_zero 0
		.amdhsa_exception_fp_ieee_overflow 0
		.amdhsa_exception_fp_ieee_underflow 0
		.amdhsa_exception_fp_ieee_inexact 0
		.amdhsa_exception_int_div_zero 0
	.end_amdhsa_kernel
	.section	.text._ZL16dequantize_blockILi32ELi2EXadL_ZL15dequantize_q4_1PKvliR15HIP_vector_typeIfLj2EEEEfEvS1_PT2_lllS2_IjLj3EElll,"axG",@progbits,_ZL16dequantize_blockILi32ELi2EXadL_ZL15dequantize_q4_1PKvliR15HIP_vector_typeIfLj2EEEEfEvS1_PT2_lllS2_IjLj3EElll,comdat
.Lfunc_end57:
	.size	_ZL16dequantize_blockILi32ELi2EXadL_ZL15dequantize_q4_1PKvliR15HIP_vector_typeIfLj2EEEEfEvS1_PT2_lllS2_IjLj3EElll, .Lfunc_end57-_ZL16dequantize_blockILi32ELi2EXadL_ZL15dequantize_q4_1PKvliR15HIP_vector_typeIfLj2EEEEfEvS1_PT2_lllS2_IjLj3EElll
                                        ; -- End function
	.section	.AMDGPU.csdata,"",@progbits
; Kernel info:
; codeLenInByte = 696
; NumSgprs: 44
; NumVgprs: 18
; NumAgprs: 0
; TotalNumVgprs: 18
; ScratchSize: 0
; MemoryBound: 0
; FloatMode: 240
; IeeeMode: 1
; LDSByteSize: 0 bytes/workgroup (compile time only)
; SGPRBlocks: 5
; VGPRBlocks: 2
; NumSGPRsForWavesPerEU: 44
; NumVGPRsForWavesPerEU: 18
; AccumOffset: 20
; Occupancy: 8
; WaveLimiterHint : 0
; COMPUTE_PGM_RSRC2:SCRATCH_EN: 0
; COMPUTE_PGM_RSRC2:USER_SGPR: 2
; COMPUTE_PGM_RSRC2:TRAP_HANDLER: 0
; COMPUTE_PGM_RSRC2:TGID_X_EN: 1
; COMPUTE_PGM_RSRC2:TGID_Y_EN: 1
; COMPUTE_PGM_RSRC2:TGID_Z_EN: 1
; COMPUTE_PGM_RSRC2:TIDIG_COMP_CNT: 0
; COMPUTE_PGM_RSRC3_GFX90A:ACCUM_OFFSET: 4
; COMPUTE_PGM_RSRC3_GFX90A:TG_SPLIT: 0
	.section	.text._ZL16dequantize_blockILi32ELi2EXadL_ZL15dequantize_q5_0PKvliR15HIP_vector_typeIfLj2EEEEfEvS1_PT2_lllS2_IjLj3EElll,"axG",@progbits,_ZL16dequantize_blockILi32ELi2EXadL_ZL15dequantize_q5_0PKvliR15HIP_vector_typeIfLj2EEEEfEvS1_PT2_lllS2_IjLj3EElll,comdat
	.globl	_ZL16dequantize_blockILi32ELi2EXadL_ZL15dequantize_q5_0PKvliR15HIP_vector_typeIfLj2EEEEfEvS1_PT2_lllS2_IjLj3EElll ; -- Begin function _ZL16dequantize_blockILi32ELi2EXadL_ZL15dequantize_q5_0PKvliR15HIP_vector_typeIfLj2EEEEfEvS1_PT2_lllS2_IjLj3EElll
	.p2align	8
	.type	_ZL16dequantize_blockILi32ELi2EXadL_ZL15dequantize_q5_0PKvliR15HIP_vector_typeIfLj2EEEEfEvS1_PT2_lllS2_IjLj3EElll,@function
_ZL16dequantize_blockILi32ELi2EXadL_ZL15dequantize_q5_0PKvliR15HIP_vector_typeIfLj2EEEEfEvS1_PT2_lllS2_IjLj3EElll: ; @_ZL16dequantize_blockILi32ELi2EXadL_ZL15dequantize_q5_0PKvliR15HIP_vector_typeIfLj2EEEEfEvS1_PT2_lllS2_IjLj3EElll
; %bb.0:
	s_mov_b32 s6, s3
	s_load_dword s3, s[0:1], 0x5c
	s_load_dwordx4 s[20:23], s[0:1], 0x10
	s_add_u32 s24, s0, 0x50
	s_addc_u32 s25, s1, 0
	v_mov_b32_e32 v1, 0
	s_waitcnt lgkmcnt(0)
	s_and_b32 s3, s3, 0xffff
	v_mov_b32_e32 v2, s2
	v_mad_u64_u32 v[4:5], s[2:3], s3, v2, v[0:1]
	v_lshlrev_b64 v[0:1], 1, v[4:5]
	v_cmp_gt_i64_e32 vcc, s[20:21], v[0:1]
	s_and_saveexec_b64 s[2:3], vcc
	s_cbranch_execz .LBB58_7
; %bb.1:
	s_load_dwordx2 s[26:27], s[0:1], 0x20
	s_mov_b32 s7, 0
	v_mov_b64_e32 v[0:1], s[22:23]
	v_cmp_ge_i64_e32 vcc, s[6:7], v[0:1]
	s_cbranch_vccnz .LBB58_7
; %bb.2:
	s_load_dwordx4 s[16:19], s[0:1], 0x0
	s_load_dwordx8 s[8:15], s[0:1], 0x28
	s_load_dwordx2 s[2:3], s[0:1], 0x48
	s_mul_i32 s0, s23, s4
	s_mul_hi_u32 s1, s22, s4
	s_add_i32 s1, s1, s0
	s_mul_i32 s0, s22, s4
	s_waitcnt lgkmcnt(0)
	v_mov_b64_e32 v[0:1], s[26:27]
	s_load_dword s26, s[24:25], 0x4
	s_add_u32 s0, s0, s6
	s_addc_u32 s1, s1, 0
	s_mul_i32 s1, s20, s1
	s_mul_hi_u32 s11, s20, s0
	v_lshrrev_b64 v[2:3], 4, v[4:5]
	s_add_i32 s1, s11, s1
	s_mul_i32 s11, s21, s0
	v_and_b32_e32 v4, 15, v4
	v_mov_b32_e32 v5, 0
	s_add_i32 s1, s1, s11
	s_mul_i32 s0, s20, s0
	v_lshlrev_b64 v[6:7], 7, v[2:3]
	v_lshl_add_u64 v[6:7], s[0:1], 2, v[6:7]
	v_lshlrev_b32_e32 v8, 2, v4
	v_mov_b32_e32 v9, v5
	s_waitcnt lgkmcnt(0)
	s_mul_i32 s0, s21, s26
	s_mul_hi_u32 s1, s20, s26
	v_lshl_add_u64 v[6:7], v[6:7], 0, v[8:9]
	s_add_i32 s1, s1, s0
	s_mul_i32 s0, s20, s26
	s_mov_b32 s5, s7
	v_lshl_add_u64 v[6:7], v[6:7], 0, s[18:19]
	s_lshl_b64 s[18:19], s[0:1], 2
	s_mul_i32 s0, s22, s21
	s_mul_hi_u32 s1, s22, s20
	s_add_i32 s0, s1, s0
	s_mul_i32 s1, s23, s20
	v_cmp_lt_i64_e32 vcc, s[4:5], v[0:1]
	s_add_i32 s1, s0, s1
	s_mul_i32 s0, s22, s20
	v_cndmask_b32_e64 v10, 0, 1, vcc
	v_add_u32_e32 v12, 12, v4
	v_lshl_add_u64 v[6:7], v[6:7], 0, 64
	s_lshl_b64 s[20:21], s[0:1], 2
	s_sub_i32 s27, 0, s10
	s_mov_b32 s28, 0x1000706
	v_mov_b64_e32 v[8:9], s[22:23]
	v_cmp_ne_u32_e64 s[0:1], 1, v10
	s_branch .LBB58_4
.LBB58_3:                               ;   in Loop: Header=BB58_4 Depth=1
	s_add_u32 s6, s6, s26
	s_addc_u32 s7, s7, 0
	v_cmp_ge_i64_e32 vcc, s[6:7], v[8:9]
	v_lshl_add_u64 v[6:7], v[6:7], 0, s[18:19]
	s_cbranch_vccnz .LBB58_7
.LBB58_4:                               ; =>This Loop Header: Depth=1
                                        ;     Child Loop BB58_6 Depth 2
	s_and_b64 vcc, exec, s[0:1]
	s_cbranch_vccnz .LBB58_3
; %bb.5:                                ;   in Loop: Header=BB58_4 Depth=1
	s_load_dword s29, s[24:25], 0x8
	s_mul_i32 s10, s6, s13
	s_mul_hi_u32 s11, s6, s12
	s_add_i32 s10, s11, s10
	s_mul_i32 s11, s7, s12
	s_add_i32 s22, s10, s11
	s_mul_i32 s23, s6, s12
	s_waitcnt lgkmcnt(0)
	s_mul_i32 s10, s21, s29
	s_mul_hi_u32 s11, s20, s29
	s_mul_i32 s22, s22, 22
	s_mul_hi_u32 s30, s23, 22
	s_add_i32 s11, s11, s10
	s_mul_i32 s10, s20, s29
	s_add_i32 s30, s30, s22
	s_mul_i32 s31, s23, 22
	v_mov_b64_e32 v[10:11], v[6:7]
	s_mov_b64 s[22:23], s[4:5]
.LBB58_6:                               ;   Parent Loop BB58_4 Depth=1
                                        ; =>  This Inner Loop Header: Depth=2
	s_mul_hi_u32 s33, s8, s22
	s_add_i32 s33, s22, s33
	s_lshr_b32 s33, s33, s9
	s_mul_i32 s34, s27, s33
	s_mul_i32 s35, s33, s3
	s_mul_hi_u32 s36, s33, s2
	s_mul_i32 s33, s33, s2
	s_add_i32 s34, s22, s34
	s_add_i32 s35, s36, s35
	s_mul_hi_u32 s36, s33, 22
	s_mul_i32 s37, s34, s15
	s_mul_hi_u32 s38, s34, s14
	s_mul_i32 s35, s35, 22
	s_mul_i32 s33, s33, 22
	;; [unrolled: 1-line block ×3, first 2 shown]
	s_add_i32 s37, s38, s37
	s_add_i32 s36, s36, s35
	s_mul_hi_u32 s35, s34, 22
	s_add_u32 s33, s16, s33
	s_mul_i32 s37, s37, 22
	s_mul_i32 s34, s34, 22
	s_addc_u32 s36, s17, s36
	s_add_i32 s35, s35, s37
	s_add_u32 s33, s33, s34
	s_addc_u32 s35, s36, s35
	s_add_u32 s34, s33, s31
	s_addc_u32 s35, s35, s30
	v_mad_u64_u32 v[14:15], s[34:35], v2, 22, s[34:35]
	v_mov_b32_e32 v16, v15
	v_mad_u64_u32 v[16:17], s[34:35], v3, 22, v[16:17]
	v_mov_b32_e32 v15, v16
	global_load_dword v13, v[14:15], off
	global_load_ushort v16, v[14:15], off offset:4
	v_lshl_add_u64 v[14:15], v[14:15], 0, v[4:5]
	global_load_ubyte v14, v[14:15], off offset:6
	s_add_u32 s22, s22, s29
	s_addc_u32 s23, s23, 0
	v_cmp_ge_i64_e32 vcc, s[22:23], v[0:1]
	s_and_b64 vcc, exec, vcc
	s_waitcnt vmcnt(2)
	v_cvt_f32_f16_e32 v15, v13
	s_waitcnt vmcnt(1)
	v_perm_b32 v13, v13, v16, s28
	v_lshrrev_b32_e32 v16, v4, v13
	v_lshrrev_b32_e32 v13, v12, v13
	s_waitcnt vmcnt(0)
	v_lshrrev_b16_e32 v17, 4, v14
	v_lshlrev_b32_e32 v16, 4, v16
	v_and_b32_e32 v13, 16, v13
	v_or_b32_e32 v17, -16, v17
	v_or_b32_e32 v14, -16, v14
	v_and_b32_e32 v16, 16, v16
	v_add_u32_sdwa v13, v13, sext(v17) dst_sel:DWORD dst_unused:UNUSED_PAD src0_sel:DWORD src1_sel:WORD_0
	v_add_u32_e32 v14, v14, v16
	v_cvt_f32_i32_e32 v13, v13
	v_cvt_f32_i32_e32 v14, v14
	v_mul_f32_e32 v13, v15, v13
	v_mul_f32_e32 v14, v15, v14
	global_store_dword v[10:11], v13, off
	global_store_dword v[10:11], v14, off offset:-64
	v_lshl_add_u64 v[10:11], v[10:11], 0, s[10:11]
	s_cbranch_vccz .LBB58_6
	s_branch .LBB58_3
.LBB58_7:
	s_endpgm
	.section	.rodata,"a",@progbits
	.p2align	6, 0x0
	.amdhsa_kernel _ZL16dequantize_blockILi32ELi2EXadL_ZL15dequantize_q5_0PKvliR15HIP_vector_typeIfLj2EEEEfEvS1_PT2_lllS2_IjLj3EElll
		.amdhsa_group_segment_fixed_size 0
		.amdhsa_private_segment_fixed_size 0
		.amdhsa_kernarg_size 336
		.amdhsa_user_sgpr_count 2
		.amdhsa_user_sgpr_dispatch_ptr 0
		.amdhsa_user_sgpr_queue_ptr 0
		.amdhsa_user_sgpr_kernarg_segment_ptr 1
		.amdhsa_user_sgpr_dispatch_id 0
		.amdhsa_user_sgpr_kernarg_preload_length 0
		.amdhsa_user_sgpr_kernarg_preload_offset 0
		.amdhsa_user_sgpr_private_segment_size 0
		.amdhsa_uses_dynamic_stack 0
		.amdhsa_enable_private_segment 0
		.amdhsa_system_sgpr_workgroup_id_x 1
		.amdhsa_system_sgpr_workgroup_id_y 1
		.amdhsa_system_sgpr_workgroup_id_z 1
		.amdhsa_system_sgpr_workgroup_info 0
		.amdhsa_system_vgpr_workitem_id 0
		.amdhsa_next_free_vgpr 18
		.amdhsa_next_free_sgpr 39
		.amdhsa_accum_offset 20
		.amdhsa_reserve_vcc 1
		.amdhsa_float_round_mode_32 0
		.amdhsa_float_round_mode_16_64 0
		.amdhsa_float_denorm_mode_32 3
		.amdhsa_float_denorm_mode_16_64 3
		.amdhsa_dx10_clamp 1
		.amdhsa_ieee_mode 1
		.amdhsa_fp16_overflow 0
		.amdhsa_tg_split 0
		.amdhsa_exception_fp_ieee_invalid_op 0
		.amdhsa_exception_fp_denorm_src 0
		.amdhsa_exception_fp_ieee_div_zero 0
		.amdhsa_exception_fp_ieee_overflow 0
		.amdhsa_exception_fp_ieee_underflow 0
		.amdhsa_exception_fp_ieee_inexact 0
		.amdhsa_exception_int_div_zero 0
	.end_amdhsa_kernel
	.section	.text._ZL16dequantize_blockILi32ELi2EXadL_ZL15dequantize_q5_0PKvliR15HIP_vector_typeIfLj2EEEEfEvS1_PT2_lllS2_IjLj3EElll,"axG",@progbits,_ZL16dequantize_blockILi32ELi2EXadL_ZL15dequantize_q5_0PKvliR15HIP_vector_typeIfLj2EEEEfEvS1_PT2_lllS2_IjLj3EElll,comdat
.Lfunc_end58:
	.size	_ZL16dequantize_blockILi32ELi2EXadL_ZL15dequantize_q5_0PKvliR15HIP_vector_typeIfLj2EEEEfEvS1_PT2_lllS2_IjLj3EElll, .Lfunc_end58-_ZL16dequantize_blockILi32ELi2EXadL_ZL15dequantize_q5_0PKvliR15HIP_vector_typeIfLj2EEEEfEvS1_PT2_lllS2_IjLj3EElll
                                        ; -- End function
	.section	.AMDGPU.csdata,"",@progbits
; Kernel info:
; codeLenInByte = 764
; NumSgprs: 45
; NumVgprs: 18
; NumAgprs: 0
; TotalNumVgprs: 18
; ScratchSize: 0
; MemoryBound: 0
; FloatMode: 240
; IeeeMode: 1
; LDSByteSize: 0 bytes/workgroup (compile time only)
; SGPRBlocks: 5
; VGPRBlocks: 2
; NumSGPRsForWavesPerEU: 45
; NumVGPRsForWavesPerEU: 18
; AccumOffset: 20
; Occupancy: 8
; WaveLimiterHint : 0
; COMPUTE_PGM_RSRC2:SCRATCH_EN: 0
; COMPUTE_PGM_RSRC2:USER_SGPR: 2
; COMPUTE_PGM_RSRC2:TRAP_HANDLER: 0
; COMPUTE_PGM_RSRC2:TGID_X_EN: 1
; COMPUTE_PGM_RSRC2:TGID_Y_EN: 1
; COMPUTE_PGM_RSRC2:TGID_Z_EN: 1
; COMPUTE_PGM_RSRC2:TIDIG_COMP_CNT: 0
; COMPUTE_PGM_RSRC3_GFX90A:ACCUM_OFFSET: 4
; COMPUTE_PGM_RSRC3_GFX90A:TG_SPLIT: 0
	.section	.text._ZL16dequantize_blockILi32ELi2EXadL_ZL15dequantize_q5_1PKvliR15HIP_vector_typeIfLj2EEEEfEvS1_PT2_lllS2_IjLj3EElll,"axG",@progbits,_ZL16dequantize_blockILi32ELi2EXadL_ZL15dequantize_q5_1PKvliR15HIP_vector_typeIfLj2EEEEfEvS1_PT2_lllS2_IjLj3EElll,comdat
	.globl	_ZL16dequantize_blockILi32ELi2EXadL_ZL15dequantize_q5_1PKvliR15HIP_vector_typeIfLj2EEEEfEvS1_PT2_lllS2_IjLj3EElll ; -- Begin function _ZL16dequantize_blockILi32ELi2EXadL_ZL15dequantize_q5_1PKvliR15HIP_vector_typeIfLj2EEEEfEvS1_PT2_lllS2_IjLj3EElll
	.p2align	8
	.type	_ZL16dequantize_blockILi32ELi2EXadL_ZL15dequantize_q5_1PKvliR15HIP_vector_typeIfLj2EEEEfEvS1_PT2_lllS2_IjLj3EElll,@function
_ZL16dequantize_blockILi32ELi2EXadL_ZL15dequantize_q5_1PKvliR15HIP_vector_typeIfLj2EEEEfEvS1_PT2_lllS2_IjLj3EElll: ; @_ZL16dequantize_blockILi32ELi2EXadL_ZL15dequantize_q5_1PKvliR15HIP_vector_typeIfLj2EEEEfEvS1_PT2_lllS2_IjLj3EElll
; %bb.0:
	s_mov_b32 s6, s3
	s_load_dword s3, s[0:1], 0x5c
	s_load_dwordx4 s[20:23], s[0:1], 0x10
	s_add_u32 s24, s0, 0x50
	s_addc_u32 s25, s1, 0
	v_mov_b32_e32 v1, 0
	s_waitcnt lgkmcnt(0)
	s_and_b32 s3, s3, 0xffff
	v_mov_b32_e32 v2, s2
	v_mad_u64_u32 v[4:5], s[2:3], s3, v2, v[0:1]
	v_lshlrev_b64 v[0:1], 1, v[4:5]
	v_cmp_gt_i64_e32 vcc, s[20:21], v[0:1]
	s_and_saveexec_b64 s[2:3], vcc
	s_cbranch_execz .LBB59_7
; %bb.1:
	s_load_dwordx2 s[26:27], s[0:1], 0x20
	s_mov_b32 s7, 0
	v_mov_b64_e32 v[0:1], s[22:23]
	v_cmp_ge_i64_e32 vcc, s[6:7], v[0:1]
	s_cbranch_vccnz .LBB59_7
; %bb.2:
	s_load_dwordx4 s[16:19], s[0:1], 0x0
	s_load_dwordx8 s[8:15], s[0:1], 0x28
	s_load_dwordx2 s[2:3], s[0:1], 0x48
	s_mul_i32 s0, s23, s4
	s_mul_hi_u32 s1, s22, s4
	s_add_i32 s1, s1, s0
	s_mul_i32 s0, s22, s4
	s_waitcnt lgkmcnt(0)
	v_mov_b64_e32 v[0:1], s[26:27]
	s_load_dword s26, s[24:25], 0x4
	s_add_u32 s0, s0, s6
	s_addc_u32 s1, s1, 0
	s_mul_i32 s1, s20, s1
	s_mul_hi_u32 s11, s20, s0
	v_lshrrev_b64 v[2:3], 4, v[4:5]
	s_add_i32 s1, s11, s1
	s_mul_i32 s11, s21, s0
	v_and_b32_e32 v4, 15, v4
	v_mov_b32_e32 v5, 0
	s_add_i32 s1, s1, s11
	s_mul_i32 s0, s20, s0
	v_lshlrev_b64 v[6:7], 7, v[2:3]
	v_lshl_add_u64 v[6:7], s[0:1], 2, v[6:7]
	v_lshlrev_b32_e32 v8, 2, v4
	v_mov_b32_e32 v9, v5
	s_waitcnt lgkmcnt(0)
	s_mul_i32 s0, s21, s26
	s_mul_hi_u32 s1, s20, s26
	v_lshl_add_u64 v[6:7], v[6:7], 0, v[8:9]
	s_add_i32 s1, s1, s0
	s_mul_i32 s0, s20, s26
	s_mov_b32 s5, s7
	v_lshl_add_u64 v[6:7], v[6:7], 0, s[18:19]
	s_lshl_b64 s[18:19], s[0:1], 2
	s_mul_i32 s0, s22, s21
	s_mul_hi_u32 s1, s22, s20
	s_add_i32 s0, s1, s0
	s_mul_i32 s1, s23, s20
	v_cmp_lt_i64_e32 vcc, s[4:5], v[0:1]
	s_add_i32 s1, s0, s1
	s_mul_i32 s0, s22, s20
	v_cndmask_b32_e64 v10, 0, 1, vcc
	v_add_u32_e32 v12, 12, v4
	v_lshl_add_u64 v[6:7], v[6:7], 0, 64
	s_lshl_b64 s[20:21], s[0:1], 2
	s_sub_i32 s27, 0, s10
	v_mov_b64_e32 v[8:9], s[22:23]
	v_cmp_ne_u32_e64 s[0:1], 1, v10
	s_branch .LBB59_4
.LBB59_3:                               ;   in Loop: Header=BB59_4 Depth=1
	s_add_u32 s6, s6, s26
	s_addc_u32 s7, s7, 0
	v_cmp_ge_i64_e32 vcc, s[6:7], v[8:9]
	v_lshl_add_u64 v[6:7], v[6:7], 0, s[18:19]
	s_cbranch_vccnz .LBB59_7
.LBB59_4:                               ; =>This Loop Header: Depth=1
                                        ;     Child Loop BB59_6 Depth 2
	s_and_b64 vcc, exec, s[0:1]
	s_cbranch_vccnz .LBB59_3
; %bb.5:                                ;   in Loop: Header=BB59_4 Depth=1
	s_load_dword s28, s[24:25], 0x8
	s_mul_i32 s10, s6, s13
	s_mul_hi_u32 s11, s6, s12
	s_add_i32 s10, s11, s10
	s_mul_i32 s11, s7, s12
	s_add_i32 s22, s10, s11
	s_mul_i32 s23, s6, s12
	s_waitcnt lgkmcnt(0)
	s_mul_i32 s10, s21, s28
	s_mul_hi_u32 s11, s20, s28
	s_mul_i32 s22, s22, 24
	s_mul_hi_u32 s29, s23, 24
	s_add_i32 s11, s11, s10
	s_mul_i32 s10, s20, s28
	s_add_i32 s29, s29, s22
	s_mul_i32 s30, s23, 24
	v_mov_b64_e32 v[10:11], v[6:7]
	s_mov_b64 s[22:23], s[4:5]
.LBB59_6:                               ;   Parent Loop BB59_4 Depth=1
                                        ; =>  This Inner Loop Header: Depth=2
	s_mul_hi_u32 s31, s8, s22
	s_add_i32 s31, s22, s31
	s_lshr_b32 s31, s31, s9
	s_mul_i32 s33, s27, s31
	s_mul_i32 s34, s31, s3
	s_mul_hi_u32 s35, s31, s2
	s_mul_i32 s31, s31, s2
	s_add_i32 s33, s22, s33
	s_add_i32 s34, s35, s34
	s_mul_hi_u32 s35, s31, 24
	s_mul_i32 s36, s33, s15
	s_mul_hi_u32 s37, s33, s14
	s_mul_i32 s34, s34, 24
	s_mul_i32 s31, s31, 24
	;; [unrolled: 1-line block ×3, first 2 shown]
	s_add_i32 s36, s37, s36
	s_add_i32 s35, s35, s34
	s_mul_hi_u32 s34, s33, 24
	s_add_u32 s31, s16, s31
	s_mul_i32 s36, s36, 24
	s_mul_i32 s33, s33, 24
	s_addc_u32 s35, s17, s35
	s_add_i32 s34, s34, s36
	s_add_u32 s31, s31, s33
	s_addc_u32 s33, s35, s34
	s_add_u32 s34, s31, s30
	s_addc_u32 s35, s33, s29
	v_mad_u64_u32 v[14:15], s[34:35], v2, 24, s[34:35]
	v_mov_b32_e32 v16, v15
	v_mad_u64_u32 v[16:17], s[34:35], v3, 24, v[16:17]
	v_mov_b32_e32 v15, v16
	global_load_ushort v13, v[14:15], off offset:6
	global_load_ushort v18, v[14:15], off offset:4
	v_lshl_add_u64 v[16:17], v[14:15], 0, v[4:5]
	global_load_dword v19, v[14:15], off
	global_load_ubyte v20, v[16:17], off offset:8
	s_add_u32 s22, s22, s28
	s_addc_u32 s23, s23, 0
	v_cmp_ge_i64_e32 vcc, s[22:23], v[0:1]
	s_and_b64 vcc, exec, vcc
	s_waitcnt vmcnt(3)
	v_lshrrev_b16_e32 v14, 8, v13
	v_and_b32_e32 v13, 0xff, v13
	v_lshlrev_b32_e32 v14, 24, v14
	v_lshlrev_b32_e32 v13, 16, v13
	s_waitcnt vmcnt(2)
	v_or3_b32 v13, v13, v18, v14
	s_waitcnt vmcnt(0)
	v_lshrrev_b16_e32 v16, 4, v20
	v_lshrrev_b32_e32 v14, v4, v13
	v_lshrrev_b32_e32 v13, v12, v13
	v_and_b32_e32 v15, 15, v20
	v_lshlrev_b32_e32 v14, 4, v14
	v_and_or_b32 v13, v13, 16, v16
	v_and_or_b32 v14, v14, 16, v15
	v_cvt_f32_ubyte0_e32 v13, v13
	v_cvt_f32_ubyte0_e32 v14, v14
	v_fma_mix_f32 v13, v19, v13, v19 op_sel:[0,0,1] op_sel_hi:[1,0,1]
	v_fma_mix_f32 v14, v19, v14, v19 op_sel:[0,0,1] op_sel_hi:[1,0,1]
	global_store_dword v[10:11], v13, off
	global_store_dword v[10:11], v14, off offset:-64
	v_lshl_add_u64 v[10:11], v[10:11], 0, s[10:11]
	s_cbranch_vccz .LBB59_6
	s_branch .LBB59_3
.LBB59_7:
	s_endpgm
	.section	.rodata,"a",@progbits
	.p2align	6, 0x0
	.amdhsa_kernel _ZL16dequantize_blockILi32ELi2EXadL_ZL15dequantize_q5_1PKvliR15HIP_vector_typeIfLj2EEEEfEvS1_PT2_lllS2_IjLj3EElll
		.amdhsa_group_segment_fixed_size 0
		.amdhsa_private_segment_fixed_size 0
		.amdhsa_kernarg_size 336
		.amdhsa_user_sgpr_count 2
		.amdhsa_user_sgpr_dispatch_ptr 0
		.amdhsa_user_sgpr_queue_ptr 0
		.amdhsa_user_sgpr_kernarg_segment_ptr 1
		.amdhsa_user_sgpr_dispatch_id 0
		.amdhsa_user_sgpr_kernarg_preload_length 0
		.amdhsa_user_sgpr_kernarg_preload_offset 0
		.amdhsa_user_sgpr_private_segment_size 0
		.amdhsa_uses_dynamic_stack 0
		.amdhsa_enable_private_segment 0
		.amdhsa_system_sgpr_workgroup_id_x 1
		.amdhsa_system_sgpr_workgroup_id_y 1
		.amdhsa_system_sgpr_workgroup_id_z 1
		.amdhsa_system_sgpr_workgroup_info 0
		.amdhsa_system_vgpr_workitem_id 0
		.amdhsa_next_free_vgpr 21
		.amdhsa_next_free_sgpr 38
		.amdhsa_accum_offset 24
		.amdhsa_reserve_vcc 1
		.amdhsa_float_round_mode_32 0
		.amdhsa_float_round_mode_16_64 0
		.amdhsa_float_denorm_mode_32 3
		.amdhsa_float_denorm_mode_16_64 3
		.amdhsa_dx10_clamp 1
		.amdhsa_ieee_mode 1
		.amdhsa_fp16_overflow 0
		.amdhsa_tg_split 0
		.amdhsa_exception_fp_ieee_invalid_op 0
		.amdhsa_exception_fp_denorm_src 0
		.amdhsa_exception_fp_ieee_div_zero 0
		.amdhsa_exception_fp_ieee_overflow 0
		.amdhsa_exception_fp_ieee_underflow 0
		.amdhsa_exception_fp_ieee_inexact 0
		.amdhsa_exception_int_div_zero 0
	.end_amdhsa_kernel
	.section	.text._ZL16dequantize_blockILi32ELi2EXadL_ZL15dequantize_q5_1PKvliR15HIP_vector_typeIfLj2EEEEfEvS1_PT2_lllS2_IjLj3EElll,"axG",@progbits,_ZL16dequantize_blockILi32ELi2EXadL_ZL15dequantize_q5_1PKvliR15HIP_vector_typeIfLj2EEEEfEvS1_PT2_lllS2_IjLj3EElll,comdat
.Lfunc_end59:
	.size	_ZL16dequantize_blockILi32ELi2EXadL_ZL15dequantize_q5_1PKvliR15HIP_vector_typeIfLj2EEEEfEvS1_PT2_lllS2_IjLj3EElll, .Lfunc_end59-_ZL16dequantize_blockILi32ELi2EXadL_ZL15dequantize_q5_1PKvliR15HIP_vector_typeIfLj2EEEEfEvS1_PT2_lllS2_IjLj3EElll
                                        ; -- End function
	.section	.AMDGPU.csdata,"",@progbits
; Kernel info:
; codeLenInByte = 780
; NumSgprs: 44
; NumVgprs: 21
; NumAgprs: 0
; TotalNumVgprs: 21
; ScratchSize: 0
; MemoryBound: 0
; FloatMode: 240
; IeeeMode: 1
; LDSByteSize: 0 bytes/workgroup (compile time only)
; SGPRBlocks: 5
; VGPRBlocks: 2
; NumSGPRsForWavesPerEU: 44
; NumVGPRsForWavesPerEU: 21
; AccumOffset: 24
; Occupancy: 8
; WaveLimiterHint : 0
; COMPUTE_PGM_RSRC2:SCRATCH_EN: 0
; COMPUTE_PGM_RSRC2:USER_SGPR: 2
; COMPUTE_PGM_RSRC2:TRAP_HANDLER: 0
; COMPUTE_PGM_RSRC2:TGID_X_EN: 1
; COMPUTE_PGM_RSRC2:TGID_Y_EN: 1
; COMPUTE_PGM_RSRC2:TGID_Z_EN: 1
; COMPUTE_PGM_RSRC2:TIDIG_COMP_CNT: 0
; COMPUTE_PGM_RSRC3_GFX90A:ACCUM_OFFSET: 5
; COMPUTE_PGM_RSRC3_GFX90A:TG_SPLIT: 0
	.section	.text._ZL16dequantize_blockILi32ELi1EXadL_ZL15dequantize_q8_0PKvliR15HIP_vector_typeIfLj2EEEEfEvS1_PT2_lllS2_IjLj3EElll,"axG",@progbits,_ZL16dequantize_blockILi32ELi1EXadL_ZL15dequantize_q8_0PKvliR15HIP_vector_typeIfLj2EEEEfEvS1_PT2_lllS2_IjLj3EElll,comdat
	.globl	_ZL16dequantize_blockILi32ELi1EXadL_ZL15dequantize_q8_0PKvliR15HIP_vector_typeIfLj2EEEEfEvS1_PT2_lllS2_IjLj3EElll ; -- Begin function _ZL16dequantize_blockILi32ELi1EXadL_ZL15dequantize_q8_0PKvliR15HIP_vector_typeIfLj2EEEEfEvS1_PT2_lllS2_IjLj3EElll
	.p2align	8
	.type	_ZL16dequantize_blockILi32ELi1EXadL_ZL15dequantize_q8_0PKvliR15HIP_vector_typeIfLj2EEEEfEvS1_PT2_lllS2_IjLj3EElll,@function
_ZL16dequantize_blockILi32ELi1EXadL_ZL15dequantize_q8_0PKvliR15HIP_vector_typeIfLj2EEEEfEvS1_PT2_lllS2_IjLj3EElll: ; @_ZL16dequantize_blockILi32ELi1EXadL_ZL15dequantize_q8_0PKvliR15HIP_vector_typeIfLj2EEEEfEvS1_PT2_lllS2_IjLj3EElll
; %bb.0:
	s_mov_b32 s6, s3
	s_load_dword s3, s[0:1], 0x5c
	s_load_dwordx4 s[20:23], s[0:1], 0x10
	s_add_u32 s24, s0, 0x50
	s_addc_u32 s25, s1, 0
	v_mov_b32_e32 v1, 0
	s_waitcnt lgkmcnt(0)
	s_and_b32 s5, s3, 0xffff
	v_mov_b32_e32 v2, s2
	v_mad_u64_u32 v[4:5], s[8:9], s5, v2, v[0:1]
	v_lshlrev_b64 v[6:7], 1, v[4:5]
	v_cmp_gt_i64_e32 vcc, s[20:21], v[6:7]
	s_and_saveexec_b64 s[8:9], vcc
	s_cbranch_execz .LBB60_7
; %bb.1:
	s_load_dwordx2 s[28:29], s[0:1], 0x20
	s_mov_b32 s7, 0
	v_mov_b64_e32 v[2:3], s[22:23]
	v_cmp_ge_i64_e32 vcc, s[6:7], v[2:3]
	s_cbranch_vccnz .LBB60_7
; %bb.2:
	s_load_dwordx4 s[16:19], s[0:1], 0x0
	s_load_dwordx8 s[8:15], s[0:1], 0x28
	s_load_dwordx2 s[26:27], s[0:1], 0x48
	s_mul_i32 s0, s23, s4
	s_mul_hi_u32 s1, s22, s4
	s_add_i32 s1, s1, s0
	s_mul_i32 s0, s22, s4
	s_waitcnt lgkmcnt(0)
	v_mov_b64_e32 v[2:3], s[28:29]
	s_load_dword s28, s[24:25], 0x4
	s_add_u32 s0, s0, s6
	s_addc_u32 s1, s1, 0
	s_mul_i32 s1, s20, s1
	s_mul_hi_u32 s11, s20, s0
	v_lshrrev_b64 v[4:5], 4, v[4:5]
	s_add_i32 s1, s11, s1
	s_mul_i32 s11, s21, s0
	s_add_i32 s1, s1, s11
	s_mul_i32 s0, s20, s0
	v_lshlrev_b64 v[8:9], 7, v[4:5]
	v_lshl_add_u64 v[8:9], s[0:1], 2, v[8:9]
	v_mov_b32_e32 v1, s3
	s_waitcnt lgkmcnt(0)
	s_mul_i32 s0, s21, s28
	s_mul_hi_u32 s1, s20, s28
	v_mad_legacy_u16 v0, s2, v1, v0
	s_add_i32 s1, s1, s0
	s_mul_i32 s0, s20, s28
	s_mov_b32 s5, s7
	v_mov_b32_e32 v7, 0
	v_and_b32_e32 v0, 15, v0
	s_lshl_b64 s[2:3], s[0:1], 2
	s_mul_i32 s0, s22, s21
	s_mul_hi_u32 s1, s22, s20
	v_lshlrev_b32_e32 v0, 3, v0
	v_mov_b32_e32 v1, v7
	s_add_i32 s0, s1, s0
	s_mul_i32 s1, s23, s20
	v_cmp_lt_i64_e32 vcc, s[4:5], v[2:3]
	v_lshl_add_u64 v[0:1], v[8:9], 0, v[0:1]
	s_add_i32 s1, s0, s1
	s_mul_i32 s0, s22, s20
	v_cndmask_b32_e64 v10, 0, 1, vcc
	v_and_b32_e32 v6, 30, v6
	v_lshl_add_u64 v[0:1], s[18:19], 0, v[0:1]
	s_lshl_b64 s[18:19], s[0:1], 2
	s_sub_i32 s29, 0, s10
	v_mov_b64_e32 v[8:9], s[22:23]
	v_cmp_ne_u32_e64 s[0:1], 1, v10
	s_branch .LBB60_4
.LBB60_3:                               ;   in Loop: Header=BB60_4 Depth=1
	s_add_u32 s6, s6, s28
	s_addc_u32 s7, s7, 0
	v_cmp_ge_i64_e32 vcc, s[6:7], v[8:9]
	v_lshl_add_u64 v[0:1], v[0:1], 0, s[2:3]
	s_cbranch_vccnz .LBB60_7
.LBB60_4:                               ; =>This Loop Header: Depth=1
                                        ;     Child Loop BB60_6 Depth 2
	s_and_b64 vcc, exec, s[0:1]
	s_cbranch_vccnz .LBB60_3
; %bb.5:                                ;   in Loop: Header=BB60_4 Depth=1
	s_load_dword s22, s[24:25], 0x8
	s_mul_i32 s10, s6, s13
	s_mul_hi_u32 s11, s6, s12
	s_add_i32 s10, s11, s10
	s_mul_i32 s11, s7, s12
	s_add_i32 s20, s10, s11
	s_waitcnt lgkmcnt(0)
	s_mul_i32 s10, s19, s22
	s_mul_hi_u32 s11, s18, s22
	s_mul_i32 s23, s6, s12
	s_add_i32 s11, s11, s10
	s_mul_i32 s10, s18, s22
	s_mul_i32 s30, s20, 34
	v_mov_b64_e32 v[10:11], v[0:1]
	s_mov_b64 s[20:21], s[4:5]
.LBB60_6:                               ;   Parent Loop BB60_4 Depth=1
                                        ; =>  This Inner Loop Header: Depth=2
	s_mul_hi_u32 s31, s8, s20
	s_add_i32 s31, s20, s31
	s_lshr_b32 s31, s31, s9
	s_mul_i32 s35, s29, s31
	s_mul_i32 s36, s31, s27
	s_mul_hi_u32 s37, s31, s26
	s_mul_i32 s31, s31, s26
	s_add_i32 s35, s20, s35
	s_add_i32 s36, s37, s36
	s_mul_hi_u32 s37, s31, 34
	s_mul_i32 s38, s35, s15
	s_mul_hi_u32 s39, s35, s14
	s_mul_i32 s36, s36, 34
	s_mul_i32 s31, s31, 34
	;; [unrolled: 1-line block ×3, first 2 shown]
	s_add_i32 s38, s39, s38
	s_add_i32 s37, s37, s36
	s_mul_hi_u32 s36, s35, 34
	s_add_u32 s31, s16, s31
	s_mul_i32 s38, s38, 34
	s_mul_i32 s35, s35, 34
	s_addc_u32 s37, s17, s37
	s_add_i32 s36, s36, s38
	s_mul_hi_u32 s33, s23, 34
	s_add_u32 s31, s31, s35
	s_mul_i32 s34, s23, 34
	s_addc_u32 s35, s37, s36
	s_add_i32 s33, s33, s30
	s_add_u32 s34, s31, s34
	s_addc_u32 s35, s35, s33
	v_mad_u64_u32 v[12:13], s[34:35], v4, 34, s[34:35]
	v_mov_b32_e32 v14, v13
	v_mad_u64_u32 v[14:15], s[34:35], v5, 34, v[14:15]
	v_mov_b32_e32 v13, v14
	v_lshl_add_u64 v[14:15], v[12:13], 0, v[6:7]
	global_load_ushort v16, v[12:13], off
	global_load_ushort v17, v[14:15], off offset:2
	s_add_u32 s20, s20, s22
	s_addc_u32 s21, s21, 0
	v_cmp_ge_i64_e32 vcc, s[20:21], v[2:3]
	s_and_b64 vcc, exec, vcc
	s_waitcnt vmcnt(1)
	v_cvt_f32_f16_e32 v12, v16
	s_waitcnt vmcnt(0)
	v_bfe_i32 v13, v17, 0, 8
	v_ashrrev_i16_e32 v14, 8, v17
	v_cvt_f32_i32_sdwa v15, sext(v14) dst_sel:DWORD dst_unused:UNUSED_PAD src0_sel:WORD_0
	v_cvt_f32_i32_sdwa v14, sext(v13) dst_sel:DWORD dst_unused:UNUSED_PAD src0_sel:WORD_0
	v_pk_mul_f32 v[12:13], v[12:13], v[14:15] op_sel_hi:[0,1]
	global_store_dwordx2 v[10:11], v[12:13], off
	v_lshl_add_u64 v[10:11], v[10:11], 0, s[10:11]
	s_cbranch_vccz .LBB60_6
	s_branch .LBB60_3
.LBB60_7:
	s_endpgm
	.section	.rodata,"a",@progbits
	.p2align	6, 0x0
	.amdhsa_kernel _ZL16dequantize_blockILi32ELi1EXadL_ZL15dequantize_q8_0PKvliR15HIP_vector_typeIfLj2EEEEfEvS1_PT2_lllS2_IjLj3EElll
		.amdhsa_group_segment_fixed_size 0
		.amdhsa_private_segment_fixed_size 0
		.amdhsa_kernarg_size 336
		.amdhsa_user_sgpr_count 2
		.amdhsa_user_sgpr_dispatch_ptr 0
		.amdhsa_user_sgpr_queue_ptr 0
		.amdhsa_user_sgpr_kernarg_segment_ptr 1
		.amdhsa_user_sgpr_dispatch_id 0
		.amdhsa_user_sgpr_kernarg_preload_length 0
		.amdhsa_user_sgpr_kernarg_preload_offset 0
		.amdhsa_user_sgpr_private_segment_size 0
		.amdhsa_uses_dynamic_stack 0
		.amdhsa_enable_private_segment 0
		.amdhsa_system_sgpr_workgroup_id_x 1
		.amdhsa_system_sgpr_workgroup_id_y 1
		.amdhsa_system_sgpr_workgroup_id_z 1
		.amdhsa_system_sgpr_workgroup_info 0
		.amdhsa_system_vgpr_workitem_id 0
		.amdhsa_next_free_vgpr 18
		.amdhsa_next_free_sgpr 40
		.amdhsa_accum_offset 20
		.amdhsa_reserve_vcc 1
		.amdhsa_float_round_mode_32 0
		.amdhsa_float_round_mode_16_64 0
		.amdhsa_float_denorm_mode_32 3
		.amdhsa_float_denorm_mode_16_64 3
		.amdhsa_dx10_clamp 1
		.amdhsa_ieee_mode 1
		.amdhsa_fp16_overflow 0
		.amdhsa_tg_split 0
		.amdhsa_exception_fp_ieee_invalid_op 0
		.amdhsa_exception_fp_denorm_src 0
		.amdhsa_exception_fp_ieee_div_zero 0
		.amdhsa_exception_fp_ieee_overflow 0
		.amdhsa_exception_fp_ieee_underflow 0
		.amdhsa_exception_fp_ieee_inexact 0
		.amdhsa_exception_int_div_zero 0
	.end_amdhsa_kernel
	.section	.text._ZL16dequantize_blockILi32ELi1EXadL_ZL15dequantize_q8_0PKvliR15HIP_vector_typeIfLj2EEEEfEvS1_PT2_lllS2_IjLj3EElll,"axG",@progbits,_ZL16dequantize_blockILi32ELi1EXadL_ZL15dequantize_q8_0PKvliR15HIP_vector_typeIfLj2EEEEfEvS1_PT2_lllS2_IjLj3EElll,comdat
.Lfunc_end60:
	.size	_ZL16dequantize_blockILi32ELi1EXadL_ZL15dequantize_q8_0PKvliR15HIP_vector_typeIfLj2EEEEfEvS1_PT2_lllS2_IjLj3EElll, .Lfunc_end60-_ZL16dequantize_blockILi32ELi1EXadL_ZL15dequantize_q8_0PKvliR15HIP_vector_typeIfLj2EEEEfEvS1_PT2_lllS2_IjLj3EElll
                                        ; -- End function
	.section	.AMDGPU.csdata,"",@progbits
; Kernel info:
; codeLenInByte = 708
; NumSgprs: 46
; NumVgprs: 18
; NumAgprs: 0
; TotalNumVgprs: 18
; ScratchSize: 0
; MemoryBound: 0
; FloatMode: 240
; IeeeMode: 1
; LDSByteSize: 0 bytes/workgroup (compile time only)
; SGPRBlocks: 5
; VGPRBlocks: 2
; NumSGPRsForWavesPerEU: 46
; NumVGPRsForWavesPerEU: 18
; AccumOffset: 20
; Occupancy: 8
; WaveLimiterHint : 0
; COMPUTE_PGM_RSRC2:SCRATCH_EN: 0
; COMPUTE_PGM_RSRC2:USER_SGPR: 2
; COMPUTE_PGM_RSRC2:TRAP_HANDLER: 0
; COMPUTE_PGM_RSRC2:TGID_X_EN: 1
; COMPUTE_PGM_RSRC2:TGID_Y_EN: 1
; COMPUTE_PGM_RSRC2:TGID_Z_EN: 1
; COMPUTE_PGM_RSRC2:TIDIG_COMP_CNT: 0
; COMPUTE_PGM_RSRC3_GFX90A:ACCUM_OFFSET: 4
; COMPUTE_PGM_RSRC3_GFX90A:TG_SPLIT: 0
	.section	.text._ZL13convert_unaryI14__hip_bfloat16fEvPKvPT0_lll15HIP_vector_typeIjLj3EElll,"axG",@progbits,_ZL13convert_unaryI14__hip_bfloat16fEvPKvPT0_lll15HIP_vector_typeIjLj3EElll,comdat
	.globl	_ZL13convert_unaryI14__hip_bfloat16fEvPKvPT0_lll15HIP_vector_typeIjLj3EElll ; -- Begin function _ZL13convert_unaryI14__hip_bfloat16fEvPKvPT0_lll15HIP_vector_typeIjLj3EElll
	.p2align	8
	.type	_ZL13convert_unaryI14__hip_bfloat16fEvPKvPT0_lll15HIP_vector_typeIjLj3EElll,@function
_ZL13convert_unaryI14__hip_bfloat16fEvPKvPT0_lll15HIP_vector_typeIjLj3EElll: ; @_ZL13convert_unaryI14__hip_bfloat16fEvPKvPT0_lll15HIP_vector_typeIjLj3EElll
; %bb.0:
	s_mov_b32 s6, s3
	s_load_dword s3, s[0:1], 0x5c
	s_load_dwordx4 s[16:19], s[0:1], 0x10
	s_add_u32 s24, s0, 0x50
	s_addc_u32 s25, s1, 0
	v_mov_b32_e32 v1, 0
	s_waitcnt lgkmcnt(0)
	s_and_b32 s3, s3, 0xffff
	v_mov_b32_e32 v2, s2
	v_mad_u64_u32 v[0:1], s[2:3], s3, v2, v[0:1]
	v_cmp_gt_i64_e32 vcc, s[16:17], v[0:1]
	s_and_saveexec_b64 s[2:3], vcc
	s_cbranch_execz .LBB61_16
; %bb.1:
	s_load_dwordx2 s[26:27], s[0:1], 0x20
	s_mov_b32 s7, 0
	v_mov_b64_e32 v[2:3], s[18:19]
	v_cmp_ge_i64_e32 vcc, s[6:7], v[2:3]
	s_cbranch_vccnz .LBB61_16
; %bb.2:
	s_load_dwordx4 s[20:23], s[0:1], 0x0
	s_load_dwordx8 s[8:15], s[0:1], 0x28
	s_load_dwordx2 s[28:29], s[0:1], 0x48
	s_waitcnt lgkmcnt(0)
	s_load_dword s11, s[24:25], 0x4
	s_mul_i32 s0, s18, s17
	s_mul_hi_u32 s1, s18, s16
	s_add_i32 s0, s1, s0
	s_mul_i32 s1, s19, s16
	s_mov_b32 s5, s7
	v_mov_b64_e32 v[4:5], s[26:27]
	s_add_i32 s1, s0, s1
	s_mul_i32 s0, s18, s16
	v_lshl_add_u64 v[2:3], v[0:1], 2, s[22:23]
	s_mov_b32 s33, s4
	s_mov_b32 s42, s7
	;; [unrolled: 1-line block ×21, first 2 shown]
	s_lshl_b64 s[22:23], s[16:17], 2
	s_lshl_b64 s[16:17], s[0:1], 2
	s_sub_i32 s62, 0, s10
	v_cmp_lt_i64_e64 s[0:1], s[4:5], v[4:5]
	v_lshlrev_b64 v[4:5], 1, v[0:1]
	v_mov_b64_e32 v[6:7], s[18:19]
	v_mov_b32_e32 v12, 0x4f800000
	v_mov_b64_e32 v[8:9], s[26:27]
	s_mov_b64 s[30:31], s[6:7]
	s_branch .LBB61_4
.LBB61_3:                               ;   in Loop: Header=BB61_4 Depth=1
	s_waitcnt lgkmcnt(0)
	s_add_u32 s30, s30, s11
	s_addc_u32 s31, s31, 0
	v_cmp_ge_i64_e32 vcc, s[30:31], v[6:7]
	s_cbranch_vccnz .LBB61_16
.LBB61_4:                               ; =>This Loop Header: Depth=1
                                        ;     Child Loop BB61_10 Depth 2
                                        ;     Child Loop BB61_14 Depth 2
	s_andn2_b64 vcc, exec, s[0:1]
	s_cbranch_vccnz .LBB61_3
; %bb.5:                                ;   in Loop: Header=BB61_4 Depth=1
	s_load_dword s6, s[24:25], 0x8
	v_mov_b64_e32 v[10:11], s[26:27]
	s_waitcnt lgkmcnt(0)
	s_add_u32 s34, s4, s6
	s_addc_u32 s35, 0, 0
	v_mov_b64_e32 v[14:15], s[34:35]
	v_cmp_lt_i64_e64 s[2:3], s[34:35], v[10:11]
	v_cmp_gt_i64_e32 vcc, s[26:27], v[14:15]
	s_and_b64 s[36:37], vcc, exec
	v_cndmask_b32_e64 v10, 0, 1, s[2:3]
	s_cselect_b32 s37, s26, s34
	v_readfirstlane_b32 s38, v10
	s_cselect_b32 s36, s27, s35
	s_sub_u32 s37, s37, s38
	s_subb_u32 s36, s36, 0
	s_sub_u32 s38, s37, s34
	s_subb_u32 s35, s36, s35
	s_mov_b32 s34, s7
	s_cmp_lg_u64 s[34:35], 0
	s_cbranch_scc0 .LBB61_15
; %bb.6:                                ;   in Loop: Header=BB61_4 Depth=1
	v_cvt_f32_u32_e32 v10, s6
	s_sub_u32 s34, 0, s6
	s_subb_u32 s36, 0, 0
	v_fmac_f32_e32 v10, 0, v12
	v_rcp_f32_e32 v10, v10
	s_nop 0
	v_mul_f32_e32 v10, 0x5f7ffffc, v10
	v_mul_f32_e32 v11, 0x2f800000, v10
	v_trunc_f32_e32 v11, v11
	v_fmac_f32_e32 v10, 0xcf800000, v11
	v_cvt_u32_f32_e32 v11, v11
	v_cvt_u32_f32_e32 v10, v10
	v_readfirstlane_b32 s37, v11
	v_readfirstlane_b32 s39, v10
	s_mul_i32 s40, s34, s37
	s_mul_hi_u32 s63, s34, s39
	s_mul_i32 s41, s36, s39
	s_add_i32 s40, s63, s40
	s_mul_i32 s64, s34, s39
	s_add_i32 s40, s40, s41
	s_mul_hi_u32 s63, s39, s64
	s_mul_hi_u32 s41, s39, s40
	s_mul_i32 s39, s39, s40
	s_add_u32 s39, s63, s39
	s_addc_u32 s41, 0, s41
	s_mul_hi_u32 s65, s37, s64
	s_mul_i32 s64, s37, s64
	s_add_u32 s39, s39, s64
	s_mul_hi_u32 s63, s37, s40
	s_addc_u32 s39, s41, s65
	s_addc_u32 s41, s63, 0
	s_mul_i32 s40, s37, s40
	s_add_u32 s39, s39, s40
	s_addc_u32 s40, 0, s41
	v_add_co_u32_e32 v10, vcc, s39, v10
	s_cmp_lg_u64 vcc, 0
	s_addc_u32 s37, s37, s40
	v_readfirstlane_b32 s40, v10
	s_mul_i32 s39, s34, s37
	s_mul_hi_u32 s41, s34, s40
	s_add_i32 s39, s41, s39
	s_mul_i32 s36, s36, s40
	s_add_i32 s39, s39, s36
	s_mul_i32 s34, s34, s40
	s_mul_hi_u32 s41, s37, s34
	s_mul_i32 s63, s37, s34
	s_mul_i32 s65, s40, s39
	s_mul_hi_u32 s34, s40, s34
	s_mul_hi_u32 s64, s40, s39
	s_add_u32 s34, s34, s65
	s_addc_u32 s40, 0, s64
	s_add_u32 s34, s34, s63
	s_mul_hi_u32 s36, s37, s39
	s_addc_u32 s34, s40, s41
	s_addc_u32 s36, s36, 0
	s_mul_i32 s39, s37, s39
	s_add_u32 s34, s34, s39
	s_addc_u32 s36, 0, s36
	v_add_co_u32_e32 v10, vcc, s34, v10
	s_cmp_lg_u64 vcc, 0
	s_addc_u32 s34, s37, s36
	v_readfirstlane_b32 s39, v10
	s_mul_i32 s37, s38, s34
	s_mul_hi_u32 s40, s38, s39
	s_mul_hi_u32 s36, s38, s34
	s_add_u32 s37, s40, s37
	s_addc_u32 s36, 0, s36
	s_mul_hi_u32 s41, s35, s39
	s_mul_i32 s39, s35, s39
	s_add_u32 s37, s37, s39
	s_mul_hi_u32 s40, s35, s34
	s_addc_u32 s36, s36, s41
	s_addc_u32 s37, s40, 0
	s_mul_i32 s34, s35, s34
	s_add_u32 s34, s36, s34
	s_addc_u32 s36, 0, s37
	s_add_u32 s37, s34, 1
	s_addc_u32 s39, s36, 0
	s_add_u32 s40, s34, 2
	s_mul_i32 s63, s6, s36
	s_mul_hi_u32 s64, s6, s34
	s_addc_u32 s41, s36, 0
	s_add_i32 s64, s64, s63
	s_mul_i32 s63, s6, s34
	v_mov_b32_e32 v10, s63
	v_sub_co_u32_e32 v10, vcc, s38, v10
	s_cmp_lg_u64 vcc, 0
	s_subb_u32 s35, s35, s64
	v_subrev_co_u32_e32 v11, vcc, s6, v10
	s_cmp_lg_u64 vcc, 0
	s_subb_u32 s63, s35, 0
	v_readfirstlane_b32 s64, v11
	s_cmp_ge_u32 s64, s6
	s_cselect_b32 s64, -1, 0
	s_cmp_eq_u32 s63, 0
	s_cselect_b32 s63, s64, -1
	s_cmp_lg_u32 s63, 0
	s_cselect_b32 s40, s40, s37
	s_cselect_b32 s37, s41, s39
	v_readfirstlane_b32 s39, v10
	s_cmp_ge_u32 s39, s6
	s_cselect_b32 s39, -1, 0
	s_cmp_eq_u32 s35, 0
	s_cselect_b32 s35, s39, -1
	s_cmp_lg_u32 s35, 0
	s_cselect_b32 s37, s37, s36
	s_cselect_b32 s36, s40, s34
	s_cbranch_execnz .LBB61_8
.LBB61_7:                               ;   in Loop: Header=BB61_4 Depth=1
	v_cvt_f32_u32_e32 v10, s6
	s_sub_i32 s34, 0, s6
	v_rcp_iflag_f32_e32 v10, v10
	s_nop 0
	v_mul_f32_e32 v10, 0x4f7ffffe, v10
	v_cvt_u32_f32_e32 v10, v10
	s_nop 0
	v_readfirstlane_b32 s35, v10
	s_mul_i32 s34, s34, s35
	s_mul_hi_u32 s34, s35, s34
	s_add_i32 s35, s35, s34
	s_mul_hi_u32 s34, s38, s35
	s_mul_i32 s36, s34, s6
	s_sub_i32 s36, s38, s36
	s_add_i32 s35, s34, 1
	s_sub_i32 s37, s36, s6
	s_cmp_ge_u32 s36, s6
	s_cselect_b32 s34, s35, s34
	s_cselect_b32 s36, s37, s36
	s_add_i32 s35, s34, 1
	s_cmp_ge_u32 s36, s6
	s_cselect_b32 s36, s35, s34
	s_mov_b32 s37, s7
.LBB61_8:                               ;   in Loop: Header=BB61_4 Depth=1
	s_mul_i32 s34, s30, s13
	s_mul_hi_u32 s35, s30, s12
	s_add_i32 s34, s35, s34
	s_mul_i32 s35, s31, s12
	s_add_i32 s35, s34, s35
	s_and_b64 s[2:3], s[2:3], exec
	s_cselect_b32 s2, 2, 1
	s_add_u32 s2, s2, s36
	s_addc_u32 s3, 0, s37
	v_cmp_gt_u64_e64 s[38:39], s[2:3], 1
	s_mul_i32 s34, s30, s12
	s_mov_b64 s[36:37], -1
	s_and_b64 vcc, exec, s[38:39]
	s_mov_b64 s[38:39], s[4:5]
	s_cbranch_vccz .LBB61_12
; %bb.9:                                ;   in Loop: Header=BB61_4 Depth=1
	s_and_b32 s36, s2, -2
	s_add_u32 s63, s4, s6
	s_mov_b32 s37, s3
	s_addc_u32 s64, 0, 0
	s_lshl_b64 s[38:39], s[6:7], 1
	s_mov_b32 s65, s33
	s_mov_b32 s66, s42
	;; [unrolled: 1-line block ×6, first 2 shown]
	s_mov_b64 s[40:41], s[36:37]
.LBB61_10:                              ;   Parent Loop BB61_4 Depth=1
                                        ; =>  This Inner Loop Header: Depth=2
	s_mul_hi_u32 s71, s65, s43
	s_mul_hi_u32 s72, s63, s44
	s_mul_i32 s73, s63, s57
	s_mul_hi_u32 s74, s63, s56
	s_add_i32 s72, s72, s63
	s_add_i32 s71, s71, s65
	s_mul_i32 s75, s64, s56
	s_mul_i32 s76, s65, s55
	s_mul_hi_u32 s77, s65, s54
	s_add_i32 s73, s74, s73
	s_lshr_b32 s71, s71, s45
	s_lshr_b32 s72, s72, s46
	s_mul_i32 s78, s66, s54
	s_add_i32 s74, s77, s76
	s_add_i32 s82, s73, s75
	s_mul_i32 s73, s72, s47
	s_mul_i32 s75, s71, s10
	s_add_i32 s83, s74, s78
	s_mul_i32 s76, s49, s72
	s_mul_hi_u32 s77, s48, s72
	s_mul_i32 s78, s29, s71
	s_mul_hi_u32 s79, s28, s71
	s_mul_i32 s74, s28, s71
	s_sub_i32 s71, s65, s75
	s_sub_i32 s84, s63, s73
	s_add_i32 s73, s77, s76
	s_add_i32 s75, s79, s78
	s_mul_i32 s77, s53, s84
	s_mul_hi_u32 s79, s52, s84
	s_mul_i32 s76, s52, s84
	s_mul_i32 s84, s51, s71
	s_mul_hi_u32 s85, s50, s71
	s_mul_i32 s81, s65, s54
	s_add_i32 s77, s79, s77
	s_add_i32 s79, s85, s84
	s_mul_i32 s78, s50, s71
	s_add_u32 s71, s81, s30
	s_mul_i32 s80, s63, s56
	s_addc_u32 s81, s83, s31
	s_add_u32 s85, s80, s69
	s_mul_i32 s83, s71, s59
	s_mul_hi_u32 s84, s71, s58
	s_addc_u32 s80, s82, s70
	s_mul_i32 s82, s85, s61
	s_mul_hi_u32 s86, s85, s60
	s_mul_i32 s81, s81, s58
	s_add_i32 s83, s84, s83
	s_add_i32 s82, s86, s82
	s_mul_i32 s80, s80, s60
	s_lshl_b64 s[74:75], s[74:75], 1
	s_add_i32 s81, s83, s81
	s_add_i32 s83, s82, s80
	s_mul_i32 s72, s48, s72
	s_add_u32 s74, s20, s74
	s_addc_u32 s75, s21, s75
	s_lshl_b64 s[72:73], s[72:73], 1
	s_add_u32 s80, s20, s72
	s_addc_u32 s82, s21, s73
	s_lshl_b64 s[72:73], s[78:79], 1
	;; [unrolled: 3-line block ×4, first 2 shown]
	s_add_u32 s74, s74, s72
	s_addc_u32 s75, s75, s73
	s_add_u32 s72, s76, s72
	v_lshl_add_u64 v[10:11], s[74:75], 0, v[4:5]
	s_addc_u32 s73, s77, s73
	global_load_ushort v13, v[10:11], off
	v_lshl_add_u64 v[10:11], s[72:73], 0, v[4:5]
	global_load_ushort v16, v[10:11], off
	s_add_u32 s63, s63, s67
	s_addc_u32 s64, s64, s68
	s_add_u32 s65, s65, s38
	s_addc_u32 s66, s66, s39
	s_mul_i32 s80, s71, s58
	s_add_u32 s40, s40, -2
	s_mul_i32 s82, s85, s60
	v_lshl_add_u64 v[10:11], s[80:81], 2, v[2:3]
	s_addc_u32 s41, s41, -1
	v_lshl_add_u64 v[14:15], s[82:83], 2, v[2:3]
	s_cmp_lg_u64 s[40:41], 0
	s_waitcnt vmcnt(1)
	v_lshlrev_b32_e32 v13, 16, v13
	global_store_dword v[10:11], v13, off
	s_waitcnt vmcnt(1)
	v_lshlrev_b32_e32 v10, 16, v16
	global_store_dword v[14:15], v10, off
	s_cbranch_scc1 .LBB61_10
; %bb.11:                               ;   in Loop: Header=BB61_4 Depth=1
	s_mul_i32 s38, s37, s6
	s_mul_hi_u32 s39, s36, s6
	s_add_i32 s39, s39, s38
	s_mul_i32 s38, s36, s6
	s_add_u32 s38, s38, s4
	s_addc_u32 s39, s39, 0
	s_cmp_lg_u64 s[2:3], s[36:37]
	s_cselect_b64 s[36:37], -1, 0
.LBB61_12:                              ;   in Loop: Header=BB61_4 Depth=1
	s_and_b64 vcc, exec, s[36:37]
	s_cbranch_vccz .LBB61_3
; %bb.13:                               ;   in Loop: Header=BB61_4 Depth=1
	s_mul_i32 s2, s18, s39
	s_mul_hi_u32 s3, s18, s38
	s_add_i32 s2, s3, s2
	s_mul_i32 s3, s19, s38
	s_add_i32 s2, s2, s3
	s_mul_i32 s3, s18, s38
	s_add_u32 s3, s30, s3
	s_addc_u32 s2, s31, s2
	s_mul_i32 s36, s23, s3
	s_mul_i32 s2, s22, s2
	v_mov_b32_e32 v10, s3
	s_add_i32 s36, s2, s36
	v_mad_u64_u32 v[10:11], s[2:3], s22, v10, v[2:3]
	s_mul_i32 s2, s17, s6
	s_mul_hi_u32 s3, s16, s6
	v_add_u32_e32 v11, s36, v11
	s_add_i32 s3, s3, s2
	s_mul_i32 s2, s16, s6
.LBB61_14:                              ;   Parent Loop BB61_4 Depth=1
                                        ; =>  This Inner Loop Header: Depth=2
	s_mul_hi_u32 s36, s8, s38
	s_add_i32 s36, s38, s36
	s_lshr_b32 s36, s36, s9
	s_mul_i32 s37, s62, s36
	s_mul_i32 s40, s36, s29
	s_mul_hi_u32 s41, s36, s28
	s_add_i32 s63, s38, s37
	s_mul_i32 s36, s36, s28
	s_add_i32 s37, s41, s40
	s_mul_i32 s41, s63, s15
	s_mul_hi_u32 s64, s63, s14
	s_lshl_b64 s[36:37], s[36:37], 1
	s_add_i32 s41, s64, s41
	s_mul_i32 s40, s63, s14
	s_add_u32 s63, s20, s36
	s_addc_u32 s64, s21, s37
	s_lshl_b64 s[36:37], s[40:41], 1
	s_add_u32 s40, s63, s36
	s_addc_u32 s41, s64, s37
	s_lshl_b64 s[36:37], s[34:35], 1
	s_add_u32 s36, s40, s36
	s_addc_u32 s37, s41, s37
	v_lshl_add_u64 v[14:15], v[0:1], 1, s[36:37]
	global_load_ushort v13, v[14:15], off
	s_add_u32 s38, s38, s6
	s_addc_u32 s39, s39, 0
	v_cmp_ge_i64_e32 vcc, s[38:39], v[8:9]
	s_and_b64 vcc, exec, vcc
	s_waitcnt vmcnt(0)
	v_lshlrev_b32_e32 v13, 16, v13
	global_store_dword v[10:11], v13, off
	v_lshl_add_u64 v[10:11], v[10:11], 0, s[2:3]
	s_cbranch_vccz .LBB61_14
	s_branch .LBB61_3
.LBB61_15:                              ;   in Loop: Header=BB61_4 Depth=1
                                        ; implicit-def: $sgpr36_sgpr37
	s_branch .LBB61_7
.LBB61_16:
	s_endpgm
	.section	.rodata,"a",@progbits
	.p2align	6, 0x0
	.amdhsa_kernel _ZL13convert_unaryI14__hip_bfloat16fEvPKvPT0_lll15HIP_vector_typeIjLj3EElll
		.amdhsa_group_segment_fixed_size 0
		.amdhsa_private_segment_fixed_size 0
		.amdhsa_kernarg_size 336
		.amdhsa_user_sgpr_count 2
		.amdhsa_user_sgpr_dispatch_ptr 0
		.amdhsa_user_sgpr_queue_ptr 0
		.amdhsa_user_sgpr_kernarg_segment_ptr 1
		.amdhsa_user_sgpr_dispatch_id 0
		.amdhsa_user_sgpr_kernarg_preload_length 0
		.amdhsa_user_sgpr_kernarg_preload_offset 0
		.amdhsa_user_sgpr_private_segment_size 0
		.amdhsa_uses_dynamic_stack 0
		.amdhsa_enable_private_segment 0
		.amdhsa_system_sgpr_workgroup_id_x 1
		.amdhsa_system_sgpr_workgroup_id_y 1
		.amdhsa_system_sgpr_workgroup_id_z 1
		.amdhsa_system_sgpr_workgroup_info 0
		.amdhsa_system_vgpr_workitem_id 0
		.amdhsa_next_free_vgpr 17
		.amdhsa_next_free_sgpr 87
		.amdhsa_accum_offset 20
		.amdhsa_reserve_vcc 1
		.amdhsa_float_round_mode_32 0
		.amdhsa_float_round_mode_16_64 0
		.amdhsa_float_denorm_mode_32 3
		.amdhsa_float_denorm_mode_16_64 3
		.amdhsa_dx10_clamp 1
		.amdhsa_ieee_mode 1
		.amdhsa_fp16_overflow 0
		.amdhsa_tg_split 0
		.amdhsa_exception_fp_ieee_invalid_op 0
		.amdhsa_exception_fp_denorm_src 0
		.amdhsa_exception_fp_ieee_div_zero 0
		.amdhsa_exception_fp_ieee_overflow 0
		.amdhsa_exception_fp_ieee_underflow 0
		.amdhsa_exception_fp_ieee_inexact 0
		.amdhsa_exception_int_div_zero 0
	.end_amdhsa_kernel
	.section	.text._ZL13convert_unaryI14__hip_bfloat16fEvPKvPT0_lll15HIP_vector_typeIjLj3EElll,"axG",@progbits,_ZL13convert_unaryI14__hip_bfloat16fEvPKvPT0_lll15HIP_vector_typeIjLj3EElll,comdat
.Lfunc_end61:
	.size	_ZL13convert_unaryI14__hip_bfloat16fEvPKvPT0_lll15HIP_vector_typeIjLj3EElll, .Lfunc_end61-_ZL13convert_unaryI14__hip_bfloat16fEvPKvPT0_lll15HIP_vector_typeIjLj3EElll
                                        ; -- End function
	.section	.AMDGPU.csdata,"",@progbits
; Kernel info:
; codeLenInByte = 1752
; NumSgprs: 93
; NumVgprs: 17
; NumAgprs: 0
; TotalNumVgprs: 17
; ScratchSize: 0
; MemoryBound: 0
; FloatMode: 240
; IeeeMode: 1
; LDSByteSize: 0 bytes/workgroup (compile time only)
; SGPRBlocks: 11
; VGPRBlocks: 2
; NumSGPRsForWavesPerEU: 93
; NumVGPRsForWavesPerEU: 17
; AccumOffset: 20
; Occupancy: 8
; WaveLimiterHint : 0
; COMPUTE_PGM_RSRC2:SCRATCH_EN: 0
; COMPUTE_PGM_RSRC2:USER_SGPR: 2
; COMPUTE_PGM_RSRC2:TRAP_HANDLER: 0
; COMPUTE_PGM_RSRC2:TGID_X_EN: 1
; COMPUTE_PGM_RSRC2:TGID_Y_EN: 1
; COMPUTE_PGM_RSRC2:TGID_Z_EN: 1
; COMPUTE_PGM_RSRC2:TIDIG_COMP_CNT: 0
; COMPUTE_PGM_RSRC3_GFX90A:ACCUM_OFFSET: 4
; COMPUTE_PGM_RSRC3_GFX90A:TG_SPLIT: 0
	.text
	.p2alignl 6, 3212836864
	.fill 256, 4, 3212836864
	.type	_ZL11iq2xxs_grid,@object        ; @_ZL11iq2xxs_grid
	.section	.rodata,"a",@progbits
	.p2align	4, 0x0
_ZL11iq2xxs_grid:
	.quad	578721382704613384              ; 0x808080808080808
	.quad	578721382704613419              ; 0x80808080808082b
	;; [unrolled: 1-line block ×132, first 2 shown]
	.quad	1803700481349388313             ; 0x1908080808080819
	.quad	1803700481349392648             ; 0x1908080808081908
	;; [unrolled: 1-line block ×124, first 2 shown]
	.size	_ZL11iq2xxs_grid, 2048

	.type	_ZL12ksigns_iq2xs,@object       ; @_ZL12ksigns_iq2xs
	.p2align	4, 0x0
_ZL12ksigns_iq2xs:
	.ascii	"\000\201\202\003\204\005\006\207\210\t\n\213\f\215\216\017\220\021\022\223\024\225\226\027\030\231\232\033\234\035\036\237\240!\"\243$\245\246'(\251\252+\254-.\2570\261\2623\26456\267\2709:\273<\275\276?\300AB\303D\305\306GH\311\312K\314MN\317P\321\322S\324UV\327\330YZ\333\\\335\336_`\341\342c\344ef\347\350ij\353l\355\356o\360qr\363t\365\366wx\371\372{\374}~\377"
	.size	_ZL12ksigns_iq2xs, 128

	.type	_ZL10iq2xs_grid,@object         ; @_ZL10iq2xs_grid
	.p2align	4, 0x0
_ZL10iq2xs_grid:
	.quad	578721382704613384              ; 0x808080808080808
	.quad	578721382704613419              ; 0x80808080808082b
	;; [unrolled: 1-line block ×254, first 2 shown]
	.quad	1803700481349388313             ; 0x1908080808080819
	.quad	1803700481349392648             ; 0x1908080808081908
	;; [unrolled: 1-line block ×258, first 2 shown]
	.size	_ZL10iq2xs_grid, 4096

	.type	_ZL9iq2s_grid,@object           ; @_ZL9iq2s_grid
	.p2align	4, 0x0
_ZL9iq2s_grid:
	.quad	578721382704613384              ; 0x808080808080808
	.quad	578721382704613419              ; 0x80808080808082b
	;; [unrolled: 1-line block ×471, first 2 shown]
	.quad	1803700481349388313             ; 0x1908080808080819
	.quad	1803700481349392648             ; 0x1908080808081908
	;; [unrolled: 1-line block ×553, first 2 shown]
	.size	_ZL9iq2s_grid, 8192

	.type	_ZL11iq3xxs_grid,@object        ; @_ZL11iq3xxs_grid
	.p2align	4, 0x0
_ZL11iq3xxs_grid:
	.long	67372036                        ; 0x4040404
	.long	67372052                        ; 0x4040414
	;; [unrolled: 1-line block ×58, first 2 shown]
	.long	201589772                       ; 0xc04040c
	.long	201589788                       ; 0xc04041c
	;; [unrolled: 1-line block ×177, first 2 shown]
	.long	1040450588                      ; 0x3e04041c
	.long	1040450604                      ; 0x3e04042c
	.long	1040450622                      ; 0x3e04043e
	.long	1040452612                      ; 0x3e040c04
	.long	1040456724                      ; 0x3e041c14
	.long	1040460820                      ; 0x3e042c14
	.long	1040978996                      ; 0x3e0c1434
	.long	1040983044                      ; 0x3e0c2404
	.long	1041501204                      ; 0x3e140c14
	.long	1041507372                      ; 0x3e14242c
	.long	1041509396                      ; 0x3e142c14
	.long	1042023428                      ; 0x3e1c0404
	.long	1042025516                      ; 0x3e1c0c2c
	.long	1042029596                      ; 0x3e1c1c1c
	.long	1042035716                      ; 0x3e1c3404
	.long	1042551820                      ; 0x3e24140c
	.long	1042555916                      ; 0x3e24240c
	.long	1043072004                      ; 0x3e2c0404
	.long	1043072020                      ; 0x3e2c0414
	.long	1043076132                      ; 0x3e2c1424
	.long	1043602436                      ; 0x3e341c04
	.size	_ZL11iq3xxs_grid, 1024

	.type	_ZL13iq1s_grid_gpu,@object      ; @_ZL13iq1s_grid_gpu
	.p2align	4, 0x0
_ZL13iq1s_grid_gpu:
	.long	0                               ; 0x0
	.long	2                               ; 0x2
	.long	257                             ; 0x101
	.long	512                             ; 0x200
	;; [unrolled: 1-line block ×3, first 2 shown]
	.long	65537                           ; 0x10001
	.long	65793                           ; 0x10101
	.long	131072                          ; 0x20000
	.long	131074                          ; 0x20002
	;; [unrolled: 1-line block ×4, first 2 shown]
	.long	16777473                        ; 0x1000101
	.long	16842753                        ; 0x1010001
	.long	16843008                        ; 0x1010100
	.long	16843010                        ; 0x1010102
	.long	16908545                        ; 0x1020101
	.long	33554432                        ; 0x2000000
	.long	33554434                        ; 0x2000002
	.long	33554944                        ; 0x2000200
	.long	33554946                        ; 0x2000202
	.long	33620225                        ; 0x2010101
	.long	33685504                        ; 0x2020000
	.long	33685506                        ; 0x2020002
	.long	33686016                        ; 0x2020200
	.long	33686018                        ; 0x2020202
	.long	272                             ; 0x110
	.long	273                             ; 0x111
	.long	65553                           ; 0x10011
	.long	65808                           ; 0x10110
	;; [unrolled: 1-line block ×5, first 2 shown]
	.long	131345                          ; 0x20111
	.long	16777233                        ; 0x1000011
	.long	16777490                        ; 0x1000112
	;; [unrolled: 1-line block ×15, first 2 shown]
	.long	32                              ; 0x20
	.long	34                              ; 0x22
	.long	544                             ; 0x220
	.long	546                             ; 0x222
	.long	65825                           ; 0x10121
	.long	131104                          ; 0x20020
	.long	131106                          ; 0x20022
	;; [unrolled: 1-line block ×4, first 2 shown]
	.long	16777505                        ; 0x1000121
	.long	16842785                        ; 0x1010021
	;; [unrolled: 1-line block ×16, first 2 shown]
	.long	69633                           ; 0x11001
	.long	69888                           ; 0x11100
	;; [unrolled: 1-line block ×3, first 2 shown]
	.long	135425                          ; 0x21101
	.long	16781313                        ; 0x1001001
	.long	16781825                        ; 0x1001201
	;; [unrolled: 1-line block ×9, first 2 shown]
	.long	4113                            ; 0x1011
	.long	4368                            ; 0x1110
	;; [unrolled: 1-line block ×4, first 2 shown]
	.long	69905                           ; 0x11111
	.long	70160                           ; 0x11210
	;; [unrolled: 1-line block ×3, first 2 shown]
	.long	135697                          ; 0x21211
	.long	16781328                        ; 0x1001010
	.long	16781585                        ; 0x1001111
	;; [unrolled: 1-line block ×24, first 2 shown]
	.long	69920                           ; 0x11120
	.long	70177                           ; 0x11221
	.long	16781345                        ; 0x1001021
	.long	16781600                        ; 0x1001120
	;; [unrolled: 1-line block ×14, first 2 shown]
	.long	8192                            ; 0x2000
	.long	8194                            ; 0x2002
	;; [unrolled: 1-line block ×4, first 2 shown]
	.long	73985                           ; 0x12101
	.long	139264                          ; 0x22000
	.long	139266                          ; 0x22002
	;; [unrolled: 1-line block ×4, first 2 shown]
	.long	16785665                        ; 0x1002101
	.long	16850945                        ; 0x1012001
	;; [unrolled: 1-line block ×13, first 2 shown]
	.long	8465                            ; 0x2111
	.long	73745                           ; 0x12011
	.long	74000                           ; 0x12110
	;; [unrolled: 1-line block ×3, first 2 shown]
	.long	139536                          ; 0x22110
	.long	139537                          ; 0x22111
	.long	16785425                        ; 0x1002011
	.long	16850960                        ; 0x1012010
	;; [unrolled: 1-line block ×12, first 2 shown]
	.long	8224                            ; 0x2020
	.long	8226                            ; 0x2022
	;; [unrolled: 1-line block ×4, first 2 shown]
	.long	74017                           ; 0x12121
	.long	139296                          ; 0x22020
	.long	139298                          ; 0x22022
	;; [unrolled: 1-line block ×4, first 2 shown]
	.long	16785697                        ; 0x1002121
	.long	16850977                        ; 0x1012021
	;; [unrolled: 1-line block ×15, first 2 shown]
	.long	1114112                         ; 0x110000
	.long	1114113                         ; 0x110001
	;; [unrolled: 1-line block ×6, first 2 shown]
	.long	17825793                        ; 0x1100001
	.long	17826048                        ; 0x1100100
	;; [unrolled: 1-line block ×14, first 2 shown]
	.long	1048593                         ; 0x100011
	.long	1048848                         ; 0x100110
	;; [unrolled: 1-line block ×11, first 2 shown]
	.long	17826065                        ; 0x1100111
	.long	17826322                        ; 0x1100212
	;; [unrolled: 1-line block ×16, first 2 shown]
	.long	1114145                         ; 0x110021
	.long	1114400                         ; 0x110120
	.long	1114402                         ; 0x110122
	.long	1179937                         ; 0x120121
	.long	17825824                        ; 0x1100020
	.long	17826082                        ; 0x1100122
	.long	17826337                        ; 0x1100221
	.long	17891362                        ; 0x1110022
	.long	17891617                        ; 0x1110121
	.long	17891872                        ; 0x1110220
	.long	17891874                        ; 0x1110222
	.long	17957152                        ; 0x1120120
	.long	17957154                        ; 0x1120122
	.long	34603297                        ; 0x2100121
	.long	34668577                        ; 0x2110021
	.long	34668832                        ; 0x2110120
	.long	34668834                        ; 0x2110122
	.long	34734369                        ; 0x2120121
	.long	1052673                         ; 0x101001
	.long	1052930                         ; 0x101102
	.long	1053185                         ; 0x101201
	.long	1118464                         ; 0x111100
	.long	1118465                         ; 0x111101
	.long	1118720                         ; 0x111200
	.long	1118721                         ; 0x111201
	.long	1183745                         ; 0x121001
	.long	1184002                         ; 0x121102
	.long	17829889                        ; 0x1101001
	.long	17830145                        ; 0x1101101
	;; [unrolled: 1-line block ×25, first 2 shown]
	.long	1052690                         ; 0x101012
	.long	1052945                         ; 0x101111
	;; [unrolled: 1-line block ×13, first 2 shown]
	.long	17829905                        ; 0x1101011
	.long	17830160                        ; 0x1101110
	;; [unrolled: 1-line block ×32, first 2 shown]
	.long	1052705                         ; 0x101021
	.long	1052960                         ; 0x101120
	;; [unrolled: 1-line block ×10, first 2 shown]
	.long	17829920                        ; 0x1101020
	.long	17829922                        ; 0x1101022
	;; [unrolled: 1-line block ×23, first 2 shown]
	.long	1122305                         ; 0x112001
	.long	1122562                         ; 0x112102
	;; [unrolled: 1-line block ×3, first 2 shown]
	.long	17833985                        ; 0x1102001
	.long	17834240                        ; 0x1102100
	;; [unrolled: 1-line block ×17, first 2 shown]
	.long	1122320                         ; 0x112010
	.long	1122322                         ; 0x112012
	;; [unrolled: 1-line block ×6, first 2 shown]
	.long	17834002                        ; 0x1102012
	.long	17834256                        ; 0x1102110
	;; [unrolled: 1-line block ×21, first 2 shown]
	.long	1057313                         ; 0x102221
	.long	1122594                         ; 0x112122
	;; [unrolled: 1-line block ×4, first 2 shown]
	.long	17834272                        ; 0x1102120
	.long	17834274                        ; 0x1102122
	;; [unrolled: 1-line block ×14, first 2 shown]
	.long	2097152                         ; 0x200000
	.long	2097154                         ; 0x200002
	;; [unrolled: 1-line block ×10, first 2 shown]
	.long	18874625                        ; 0x1200101
	.long	18939905                        ; 0x1210001
	;; [unrolled: 1-line block ×15, first 2 shown]
	.long	2097425                         ; 0x200111
	.long	2162705                         ; 0x210011
	;; [unrolled: 1-line block ×5, first 2 shown]
	.long	18874386                        ; 0x1200012
	.long	18874640                        ; 0x1200110
	;; [unrolled: 1-line block ×15, first 2 shown]
	.long	2097185                         ; 0x200021
	.long	2097696                         ; 0x200220
	;; [unrolled: 1-line block ×9, first 2 shown]
	.long	18874657                        ; 0x1200121
	.long	18939937                        ; 0x1210021
	;; [unrolled: 1-line block ×14, first 2 shown]
	.long	2101505                         ; 0x201101
	.long	2167040                         ; 0x211100
	;; [unrolled: 1-line block ×5, first 2 shown]
	.long	18878720                        ; 0x1201100
	.long	18878721                        ; 0x1201101
	;; [unrolled: 1-line block ×15, first 2 shown]
	.long	2101777                         ; 0x201211
	.long	2167057                         ; 0x211111
	;; [unrolled: 1-line block ×4, first 2 shown]
	.long	18878480                        ; 0x1201010
	.long	18878737                        ; 0x1201111
	;; [unrolled: 1-line block ×20, first 2 shown]
	.long	2101537                         ; 0x201121
	.long	2166816                         ; 0x211020
	;; [unrolled: 1-line block ×5, first 2 shown]
	.long	18878497                        ; 0x1201021
	.long	18879009                        ; 0x1201221
	;; [unrolled: 1-line block ×10, first 2 shown]
	.long	2105344                         ; 0x202000
	.long	2105346                         ; 0x202002
	;; [unrolled: 1-line block ×9, first 2 shown]
	.long	18882817                        ; 0x1202101
	.long	18948097                        ; 0x1212001
	.long	18948352                        ; 0x1212100
	.long	19013889                        ; 0x1222101
	.long	35659776                        ; 0x2202000
	.long	35659778                        ; 0x2202002
	.long	35660288                        ; 0x2202200
	.long	35660290                        ; 0x2202202
	.long	35790848                        ; 0x2222000
	.long	35790850                        ; 0x2222002
	.long	35791360                        ; 0x2222200
	.long	35791362                        ; 0x2222202
	.long	2105873                         ; 0x202211
	.long	2170897                         ; 0x212011
	;; [unrolled: 1-line block ×5, first 2 shown]
	.long	18882834                        ; 0x1202112
	.long	18883089                        ; 0x1202211
	;; [unrolled: 1-line block ×14, first 2 shown]
	.long	2105376                         ; 0x202020
	.long	2105378                         ; 0x202022
	;; [unrolled: 1-line block ×8, first 2 shown]
	.long	18882849                        ; 0x1202121
	.long	18948129                        ; 0x1212021
	;; [unrolled: 1-line block ×14, first 2 shown]
	.long	268435713                       ; 0x10000101
	.long	268500993                       ; 0x10010001
	;; [unrolled: 1-line block ×1419, first 2 shown]
	.size	_ZL13iq1s_grid_gpu, 8192

	.type	_ZL13kvalues_iq4nl,@object      ; @_ZL13kvalues_iq4nl
	.section	.rodata.cst16,"aM",@progbits,16
	.p2align	4, 0x0
_ZL13kvalues_iq4nl:
	.ascii	"\201\230\255\277\317\335\352\366\001\r\031&5EYq"
	.size	_ZL13kvalues_iq4nl, 16

	.type	_ZL9iq3s_grid,@object           ; @_ZL9iq3s_grid
	.section	.rodata,"a",@progbits
	.p2align	4, 0x0
_ZL9iq3s_grid:
	.long	16843009                        ; 0x1010101
	.long	16843011                        ; 0x1010103
	;; [unrolled: 1-line block ×281, first 2 shown]
	.long	117506309                       ; 0x7010105
	.long	117506819                       ; 0x7010303
	.long	117506823                       ; 0x7010307
	.long	117506827                       ; 0x701030b
	.long	117506831                       ; 0x701030f
	.long	117507333                       ; 0x7010505
	.long	117507843                       ; 0x7010703
	.long	117507847                       ; 0x7010707
	.long	117507851                       ; 0x701070b
	.long	117508357                       ; 0x7010905
	.long	117508361                       ; 0x7010909
	.long	117508367                       ; 0x701090f
	.long	117508867                       ; 0x7010b03
	.long	117509383                       ; 0x7010d07
	.long	117509891                       ; 0x7010f03
	.long	117637379                       ; 0x7030103
	.long	117637383                       ; 0x7030107
	.long	117637387                       ; 0x703010b
	.long	117637897                       ; 0x7030309
	.long	117638403                       ; 0x7030503
	.long	117638407                       ; 0x7030507
	.long	117639425                       ; 0x7030901
	.long	117640449                       ; 0x7030d01
	.long	117640965                       ; 0x7030f05
	.long	117640973                       ; 0x7030f0d
	.long	117768449                       ; 0x7050101
	.long	117768965                       ; 0x7050305
	.long	117769473                       ; 0x7050501
	.long	117769989                       ; 0x7050705
	.long	117769993                       ; 0x7050709
	.long	117771009                       ; 0x7050b01
	.long	117899523                       ; 0x7070103
	.long	117900033                       ; 0x7070301
	.long	117900041                       ; 0x7070309
	.long	117900547                       ; 0x7070503
	.long	117900551                       ; 0x7070507
	.long	117900559                       ; 0x707050f
	.long	117901057                       ; 0x7070701
	.long	117901571                       ; 0x7070903
	.long	117901575                       ; 0x7070907
	.long	117901583                       ; 0x707090f
	.long	117902091                       ; 0x7070b0b
	.long	117903111                       ; 0x7070f07
	.long	118030599                       ; 0x7090107
	.long	118031107                       ; 0x7090303
	.long	118031117                       ; 0x709030d
	.long	118031621                       ; 0x7090505
	.long	118032131                       ; 0x7090703
	.long	118033157                       ; 0x7090b05
	.long	118033665                       ; 0x7090d01
	.long	118033673                       ; 0x7090d09
	.long	118161667                       ; 0x70b0103
	.long	118162177                       ; 0x70b0301
	.long	118162181                       ; 0x70b0305
	.long	118162699                       ; 0x70b050b
	.long	118163205                       ; 0x70b0705
	.long	118163721                       ; 0x70b0909
	.long	118164237                       ; 0x70b0b0d
	.long	118165255                       ; 0x70b0f07
	.long	118293261                       ; 0x70d030d
	.long	118294787                       ; 0x70d0903
	.long	118423811                       ; 0x70f0103
	.long	118423815                       ; 0x70f0107
	.long	118424833                       ; 0x70f0501
	.long	118424837                       ; 0x70f0505
	.long	118425355                       ; 0x70f070b
	.long	151060737                       ; 0x9010101
	.long	151060745                       ; 0x9010109
	.long	151061253                       ; 0x9010305
	.long	151061761                       ; 0x9010501
	.long	151061769                       ; 0x9010509
	.long	151061775                       ; 0x901050f
	.long	151062277                       ; 0x9010705
	.long	151062787                       ; 0x9010903
	.long	151063297                       ; 0x9010b01
	.long	151064321                       ; 0x9010f01
	.long	151191813                       ; 0x9030105
	.long	151191823                       ; 0x903010f
	.long	151192323                       ; 0x9030303
	.long	151192327                       ; 0x9030307
	.long	151192837                       ; 0x9030505
	.long	151193345                       ; 0x9030701
	.long	151193355                       ; 0x903070b
	.long	151193863                       ; 0x9030907
	.long	151194371                       ; 0x9030b03
	.long	151194379                       ; 0x9030b0b
	.long	151322883                       ; 0x9050103
	.long	151322887                       ; 0x9050107
	.long	151323393                       ; 0x9050301
	.long	151323403                       ; 0x905030b
	.long	151323907                       ; 0x9050503
	.long	151324423                       ; 0x9050707
	.long	151324929                       ; 0x9050901
	.long	151325455                       ; 0x9050b0f
	.long	151325957                       ; 0x9050d05
	.long	151326465                       ; 0x9050f01
	.long	151453961                       ; 0x9070109
	.long	151454467                       ; 0x9070303
	.long	151454471                       ; 0x9070307
	.long	151454977                       ; 0x9070501
	.long	151454981                       ; 0x9070505
	.long	151455491                       ; 0x9070703
	.long	151455499                       ; 0x907070b
	.long	151585025                       ; 0x9090101
	.long	151585029                       ; 0x9090105
	.long	151586057                       ; 0x9090509
	.long	151586575                       ; 0x909070f
	.long	151587073                       ; 0x9090901
	.long	151588611                       ; 0x9090f03
	.long	151716107                       ; 0x90b010b
	.long	151716111                       ; 0x90b010f
	.long	151717123                       ; 0x90b0503
	.long	151719173                       ; 0x90b0d05
	.long	151847687                       ; 0x90d0307
	.long	151848713                       ; 0x90d0709
	.long	151850241                       ; 0x90d0d01
	.long	151978753                       ; 0x90f0301
	.long	151978763                       ; 0x90f030b
	.long	151979777                       ; 0x90f0701
	.long	151980295                       ; 0x90f0907
	.long	151980803                       ; 0x90f0b03
	.long	184615173                       ; 0xb010105
	.long	184615681                       ; 0xb010301
	.long	184615689                       ; 0xb010309
	.long	184616197                       ; 0xb010505
	.long	184617217                       ; 0xb010901
	.long	184617225                       ; 0xb010909
	.long	184617231                       ; 0xb01090f
	.long	184617733                       ; 0xb010b05
	.long	184618253                       ; 0xb010d0d
	.long	184618761                       ; 0xb010f09
	.long	184746243                       ; 0xb030103
	.long	184746247                       ; 0xb030107
	.long	184746251                       ; 0xb03010b
	.long	184746757                       ; 0xb030305
	.long	184747267                       ; 0xb030503
	.long	184747781                       ; 0xb030705
	.long	184749829                       ; 0xb030f05
	.long	184877313                       ; 0xb050101
	.long	184877827                       ; 0xb050303
	.long	184878343                       ; 0xb050507
	.long	184878849                       ; 0xb050701
	.long	184878861                       ; 0xb05070d
	.long	184879879                       ; 0xb050b07
	.long	185008389                       ; 0xb070105
	.long	185008399                       ; 0xb07010f
	.long	185008897                       ; 0xb070301
	.long	185009423                       ; 0xb07050f
	.long	185010441                       ; 0xb070909
	.long	185010947                       ; 0xb070b03
	.long	185011467                       ; 0xb070d0b
	.long	185011975                       ; 0xb070f07
	.long	185139459                       ; 0xb090103
	.long	185139465                       ; 0xb090109
	.long	185140481                       ; 0xb090501
	.long	185140997                       ; 0xb090705
	.long	185141517                       ; 0xb09090d
	.long	185271045                       ; 0xb0b0305
	.long	185271565                       ; 0xb0b050d
	.long	185273091                       ; 0xb0b0b03
	.long	185273095                       ; 0xb0b0b07
	.long	185403653                       ; 0xb0d0905
	.long	185532677                       ; 0xb0f0105
	.long	185532681                       ; 0xb0f0109
	.long	185533701                       ; 0xb0f0505
	.long	218170115                       ; 0xd010303
	.long	218170119                       ; 0xd010307
	.long	218170123                       ; 0xd01030b
	.long	218171139                       ; 0xd010703
	.long	218171143                       ; 0xd010707
	.long	218172673                       ; 0xd010d01
	.long	218300673                       ; 0xd030101
	.long	218301697                       ; 0xd030501
	.long	218301711                       ; 0xd03050f
	.long	218303753                       ; 0xd030d09
	.long	218432261                       ; 0xd050305
	.long	218433289                       ; 0xd050709
	.long	218433797                       ; 0xd050905
	.long	218434315                       ; 0xd050b0b
	.long	218434821                       ; 0xd050d05
	.long	218435329                       ; 0xd050f01
	.long	218562817                       ; 0xd070101
	.long	218563337                       ; 0xd070309
	.long	218563843                       ; 0xd070503
	.long	218564865                       ; 0xd070901
	.long	218694923                       ; 0xd09050b
	.long	218695943                       ; 0xd090907
	.long	218696965                       ; 0xd090d05
	.long	218824961                       ; 0xd0b0101
	.long	218824967                       ; 0xd0b0107
	.long	218826505                       ; 0xd0b0709
	.long	218828033                       ; 0xd0b0d01
	.long	218956043                       ; 0xd0d010b
	.long	218958081                       ; 0xd0d0901
	.long	219087619                       ; 0xd0f0303
	.long	219087623                       ; 0xd0f0307
	.long	251724033                       ; 0xf010101
	.long	251724041                       ; 0xf010109
	.long	251724047                       ; 0xf01010f
	.long	251725057                       ; 0xf010501
	.long	251725061                       ; 0xf010505
	.long	251725581                       ; 0xf01070d
	.long	251726081                       ; 0xf010901
	.long	251726601                       ; 0xf010b09
	.long	251727109                       ; 0xf010d05
	.long	251855109                       ; 0xf030105
	.long	251855619                       ; 0xf030303
	.long	251856137                       ; 0xf030509
	.long	251857159                       ; 0xf030907
	.long	251857163                       ; 0xf03090b
	.long	251986179                       ; 0xf050103
	.long	251986185                       ; 0xf050109
	.long	251986689                       ; 0xf050301
	.long	251986701                       ; 0xf05030d
	.long	251987203                       ; 0xf050503
	.long	251987713                       ; 0xf050701
	.long	251988739                       ; 0xf050b03
	.long	252117253                       ; 0xf070105
	.long	252118789                       ; 0xf070705
	.long	252118795                       ; 0xf07070b
	.long	252119815                       ; 0xf070b07
	.long	252248323                       ; 0xf090103
	.long	252248331                       ; 0xf09010b
	.long	252248839                       ; 0xf090307
	.long	252249345                       ; 0xf090501
	.long	252250881                       ; 0xf090b01
	.long	252380421                       ; 0xf0b0505
	.long	252381445                       ; 0xf0b0905
	.long	252510469                       ; 0xf0d0105
	.long	252512003                       ; 0xf0d0703
	.long	252641537                       ; 0xf0f0101
	.size	_ZL9iq3s_grid, 2048

	.type	_ZL13kvalues_mxfp4,@object      ; @_ZL13kvalues_mxfp4
	.section	.rodata.cst16,"aM",@progbits,16
	.p2align	4, 0x0
_ZL13kvalues_mxfp4:
	.ascii	"\000\001\002\003\004\006\b\f\000\377\376\375\374\372\370\364"
	.size	_ZL13kvalues_mxfp4, 16

	.type	__hip_cuid_bf31d895765d02f7,@object ; @__hip_cuid_bf31d895765d02f7
	.section	.bss,"aw",@nobits
	.globl	__hip_cuid_bf31d895765d02f7
__hip_cuid_bf31d895765d02f7:
	.byte	0                               ; 0x0
	.size	__hip_cuid_bf31d895765d02f7, 1

	.ident	"AMD clang version 19.0.0git (https://github.com/RadeonOpenCompute/llvm-project roc-6.4.0 25133 c7fe45cf4b819c5991fe208aaa96edf142730f1d)"
	.section	".note.GNU-stack","",@progbits
	.addrsig
	.addrsig_sym __hip_cuid_bf31d895765d02f7
	.amdgpu_metadata
---
amdhsa.kernels:
  - .agpr_count:     0
    .args:
      - .actual_access:  read_only
        .address_space:  global
        .offset:         0
        .size:           8
        .value_kind:     global_buffer
      - .actual_access:  write_only
        .address_space:  global
        .offset:         8
        .size:           8
        .value_kind:     global_buffer
      - .offset:         16
        .size:           8
        .value_kind:     by_value
    .group_segment_fixed_size: 2176
    .kernarg_segment_align: 8
    .kernarg_segment_size: 24
    .language:       OpenCL C
    .language_version:
      - 2
      - 0
    .max_flat_workgroup_size: 1024
    .name:           _ZL25dequantize_block_q8_0_f16ILb0EEvPKvP6__halfl
    .private_segment_fixed_size: 0
    .sgpr_count:     16
    .sgpr_spill_count: 0
    .symbol:         _ZL25dequantize_block_q8_0_f16ILb0EEvPKvP6__halfl.kd
    .uniform_work_group_size: 1
    .uses_dynamic_stack: false
    .vgpr_count:     32
    .vgpr_spill_count: 0
    .wavefront_size: 64
  - .agpr_count:     0
    .args:
      - .actual_access:  read_only
        .address_space:  global
        .offset:         0
        .size:           8
        .value_kind:     global_buffer
      - .actual_access:  write_only
        .address_space:  global
        .offset:         8
        .size:           8
        .value_kind:     global_buffer
      - .offset:         16
        .size:           8
        .value_kind:     by_value
    .group_segment_fixed_size: 2176
    .kernarg_segment_align: 8
    .kernarg_segment_size: 24
    .language:       OpenCL C
    .language_version:
      - 2
      - 0
    .max_flat_workgroup_size: 1024
    .name:           _ZL25dequantize_block_q8_0_f16ILb1EEvPKvP6__halfl
    .private_segment_fixed_size: 0
    .sgpr_count:     22
    .sgpr_spill_count: 0
    .symbol:         _ZL25dequantize_block_q8_0_f16ILb1EEvPKvP6__halfl.kd
    .uniform_work_group_size: 1
    .uses_dynamic_stack: false
    .vgpr_count:     10
    .vgpr_spill_count: 0
    .wavefront_size: 64
  - .agpr_count:     0
    .args:
      - .actual_access:  read_only
        .address_space:  global
        .offset:         0
        .size:           8
        .value_kind:     global_buffer
      - .actual_access:  write_only
        .address_space:  global
        .offset:         8
        .size:           8
        .value_kind:     global_buffer
      - .offset:         16
        .size:           4
        .value_kind:     by_value
    .group_segment_fixed_size: 0
    .kernarg_segment_align: 8
    .kernarg_segment_size: 20
    .language:       OpenCL C
    .language_version:
      - 2
      - 0
    .max_flat_workgroup_size: 1024
    .name:           _ZL21dequantize_block_q4_0I6__halfEvPKvPT_i
    .private_segment_fixed_size: 0
    .sgpr_count:     14
    .sgpr_spill_count: 0
    .symbol:         _ZL21dequantize_block_q4_0I6__halfEvPKvPT_i.kd
    .uniform_work_group_size: 1
    .uses_dynamic_stack: false
    .vgpr_count:     14
    .vgpr_spill_count: 0
    .wavefront_size: 64
  - .agpr_count:     0
    .args:
      - .actual_access:  read_only
        .address_space:  global
        .offset:         0
        .size:           8
        .value_kind:     global_buffer
      - .actual_access:  write_only
        .address_space:  global
        .offset:         8
        .size:           8
        .value_kind:     global_buffer
      - .offset:         16
        .size:           4
        .value_kind:     by_value
    .group_segment_fixed_size: 0
    .kernarg_segment_align: 8
    .kernarg_segment_size: 20
    .language:       OpenCL C
    .language_version:
      - 2
      - 0
    .max_flat_workgroup_size: 1024
    .name:           _ZL21dequantize_block_q4_1I6__halfEvPKvPT_i
    .private_segment_fixed_size: 0
    .sgpr_count:     14
    .sgpr_spill_count: 0
    .symbol:         _ZL21dequantize_block_q4_1I6__halfEvPKvPT_i.kd
    .uniform_work_group_size: 1
    .uses_dynamic_stack: false
    .vgpr_count:     13
    .vgpr_spill_count: 0
    .wavefront_size: 64
  - .agpr_count:     0
    .args:
      - .actual_access:  read_only
        .address_space:  global
        .offset:         0
        .size:           8
        .value_kind:     global_buffer
      - .actual_access:  write_only
        .address_space:  global
        .offset:         8
        .size:           8
        .value_kind:     global_buffer
    .group_segment_fixed_size: 0
    .kernarg_segment_align: 8
    .kernarg_segment_size: 16
    .language:       OpenCL C
    .language_version:
      - 2
      - 0
    .max_flat_workgroup_size: 1024
    .name:           _ZL21dequantize_block_q2_KI6__halfEvPKvPT_
    .private_segment_fixed_size: 0
    .sgpr_count:     14
    .sgpr_spill_count: 0
    .symbol:         _ZL21dequantize_block_q2_KI6__halfEvPKvPT_.kd
    .uniform_work_group_size: 1
    .uses_dynamic_stack: false
    .vgpr_count:     16
    .vgpr_spill_count: 0
    .wavefront_size: 64
  - .agpr_count:     0
    .args:
      - .actual_access:  read_only
        .address_space:  global
        .offset:         0
        .size:           8
        .value_kind:     global_buffer
      - .actual_access:  write_only
        .address_space:  global
        .offset:         8
        .size:           8
        .value_kind:     global_buffer
    .group_segment_fixed_size: 0
    .kernarg_segment_align: 8
    .kernarg_segment_size: 16
    .language:       OpenCL C
    .language_version:
      - 2
      - 0
    .max_flat_workgroup_size: 1024
    .name:           _ZL21dequantize_block_q3_KI6__halfEvPKvPT_
    .private_segment_fixed_size: 0
    .sgpr_count:     20
    .sgpr_spill_count: 0
    .symbol:         _ZL21dequantize_block_q3_KI6__halfEvPKvPT_.kd
    .uniform_work_group_size: 1
    .uses_dynamic_stack: false
    .vgpr_count:     18
    .vgpr_spill_count: 0
    .wavefront_size: 64
  - .agpr_count:     0
    .args:
      - .actual_access:  read_only
        .address_space:  global
        .offset:         0
        .size:           8
        .value_kind:     global_buffer
      - .actual_access:  write_only
        .address_space:  global
        .offset:         8
        .size:           8
        .value_kind:     global_buffer
    .group_segment_fixed_size: 0
    .kernarg_segment_align: 8
    .kernarg_segment_size: 16
    .language:       OpenCL C
    .language_version:
      - 2
      - 0
    .max_flat_workgroup_size: 1024
    .name:           _ZL21dequantize_block_q4_KI6__halfEvPKvPT_
    .private_segment_fixed_size: 0
    .sgpr_count:     15
    .sgpr_spill_count: 0
    .symbol:         _ZL21dequantize_block_q4_KI6__halfEvPKvPT_.kd
    .uniform_work_group_size: 1
    .uses_dynamic_stack: false
    .vgpr_count:     16
    .vgpr_spill_count: 0
    .wavefront_size: 64
  - .agpr_count:     0
    .args:
      - .actual_access:  read_only
        .address_space:  global
        .offset:         0
        .size:           8
        .value_kind:     global_buffer
      - .actual_access:  write_only
        .address_space:  global
        .offset:         8
        .size:           8
        .value_kind:     global_buffer
    .group_segment_fixed_size: 0
    .kernarg_segment_align: 8
    .kernarg_segment_size: 16
    .language:       OpenCL C
    .language_version:
      - 2
      - 0
    .max_flat_workgroup_size: 1024
    .name:           _ZL21dequantize_block_q5_KI6__halfEvPKvPT_
    .private_segment_fixed_size: 0
    .sgpr_count:     15
    .sgpr_spill_count: 0
    .symbol:         _ZL21dequantize_block_q5_KI6__halfEvPKvPT_.kd
    .uniform_work_group_size: 1
    .uses_dynamic_stack: false
    .vgpr_count:     15
    .vgpr_spill_count: 0
    .wavefront_size: 64
  - .agpr_count:     0
    .args:
      - .actual_access:  read_only
        .address_space:  global
        .offset:         0
        .size:           8
        .value_kind:     global_buffer
      - .actual_access:  write_only
        .address_space:  global
        .offset:         8
        .size:           8
        .value_kind:     global_buffer
    .group_segment_fixed_size: 0
    .kernarg_segment_align: 8
    .kernarg_segment_size: 16
    .language:       OpenCL C
    .language_version:
      - 2
      - 0
    .max_flat_workgroup_size: 1024
    .name:           _ZL21dequantize_block_q6_KI6__halfEvPKvPT_
    .private_segment_fixed_size: 0
    .sgpr_count:     14
    .sgpr_spill_count: 0
    .symbol:         _ZL21dequantize_block_q6_KI6__halfEvPKvPT_.kd
    .uniform_work_group_size: 1
    .uses_dynamic_stack: false
    .vgpr_count:     16
    .vgpr_spill_count: 0
    .wavefront_size: 64
  - .agpr_count:     0
    .args:
      - .actual_access:  read_only
        .address_space:  global
        .offset:         0
        .size:           8
        .value_kind:     global_buffer
      - .actual_access:  write_only
        .address_space:  global
        .offset:         8
        .size:           8
        .value_kind:     global_buffer
    .group_segment_fixed_size: 0
    .kernarg_segment_align: 8
    .kernarg_segment_size: 16
    .language:       OpenCL C
    .language_version:
      - 2
      - 0
    .max_flat_workgroup_size: 1024
    .name:           _ZL24dequantize_block_iq2_xxsI6__halfEvPKvPT_
    .private_segment_fixed_size: 0
    .sgpr_count:     14
    .sgpr_spill_count: 0
    .symbol:         _ZL24dequantize_block_iq2_xxsI6__halfEvPKvPT_.kd
    .uniform_work_group_size: 1
    .uses_dynamic_stack: false
    .vgpr_count:     19
    .vgpr_spill_count: 0
    .wavefront_size: 64
  - .agpr_count:     0
    .args:
      - .actual_access:  read_only
        .address_space:  global
        .offset:         0
        .size:           8
        .value_kind:     global_buffer
      - .actual_access:  write_only
        .address_space:  global
        .offset:         8
        .size:           8
        .value_kind:     global_buffer
    .group_segment_fixed_size: 0
    .kernarg_segment_align: 8
    .kernarg_segment_size: 16
    .language:       OpenCL C
    .language_version:
      - 2
      - 0
    .max_flat_workgroup_size: 1024
    .name:           _ZL23dequantize_block_iq2_xsI6__halfEvPKvPT_
    .private_segment_fixed_size: 0
    .sgpr_count:     14
    .sgpr_spill_count: 0
    .symbol:         _ZL23dequantize_block_iq2_xsI6__halfEvPKvPT_.kd
    .uniform_work_group_size: 1
    .uses_dynamic_stack: false
    .vgpr_count:     19
    .vgpr_spill_count: 0
    .wavefront_size: 64
  - .agpr_count:     0
    .args:
      - .actual_access:  read_only
        .address_space:  global
        .offset:         0
        .size:           8
        .value_kind:     global_buffer
      - .actual_access:  write_only
        .address_space:  global
        .offset:         8
        .size:           8
        .value_kind:     global_buffer
    .group_segment_fixed_size: 0
    .kernarg_segment_align: 8
    .kernarg_segment_size: 16
    .language:       OpenCL C
    .language_version:
      - 2
      - 0
    .max_flat_workgroup_size: 1024
    .name:           _ZL22dequantize_block_iq2_sI6__halfEvPKvPT_
    .private_segment_fixed_size: 0
    .sgpr_count:     14
    .sgpr_spill_count: 0
    .symbol:         _ZL22dequantize_block_iq2_sI6__halfEvPKvPT_.kd
    .uniform_work_group_size: 1
    .uses_dynamic_stack: false
    .vgpr_count:     19
    .vgpr_spill_count: 0
    .wavefront_size: 64
  - .agpr_count:     0
    .args:
      - .actual_access:  read_only
        .address_space:  global
        .offset:         0
        .size:           8
        .value_kind:     global_buffer
      - .actual_access:  write_only
        .address_space:  global
        .offset:         8
        .size:           8
        .value_kind:     global_buffer
    .group_segment_fixed_size: 0
    .kernarg_segment_align: 8
    .kernarg_segment_size: 16
    .language:       OpenCL C
    .language_version:
      - 2
      - 0
    .max_flat_workgroup_size: 1024
    .name:           _ZL24dequantize_block_iq3_xxsI6__halfEvPKvPT_
    .private_segment_fixed_size: 0
    .sgpr_count:     14
    .sgpr_spill_count: 0
    .symbol:         _ZL24dequantize_block_iq3_xxsI6__halfEvPKvPT_.kd
    .uniform_work_group_size: 1
    .uses_dynamic_stack: false
    .vgpr_count:     19
    .vgpr_spill_count: 0
    .wavefront_size: 64
  - .agpr_count:     0
    .args:
      - .actual_access:  read_only
        .address_space:  global
        .offset:         0
        .size:           8
        .value_kind:     global_buffer
      - .actual_access:  write_only
        .address_space:  global
        .offset:         8
        .size:           8
        .value_kind:     global_buffer
    .group_segment_fixed_size: 0
    .kernarg_segment_align: 8
    .kernarg_segment_size: 16
    .language:       OpenCL C
    .language_version:
      - 2
      - 0
    .max_flat_workgroup_size: 1024
    .name:           _ZL22dequantize_block_iq1_sI6__halfEvPKvPT_
    .private_segment_fixed_size: 0
    .sgpr_count:     14
    .sgpr_spill_count: 0
    .symbol:         _ZL22dequantize_block_iq1_sI6__halfEvPKvPT_.kd
    .uniform_work_group_size: 1
    .uses_dynamic_stack: false
    .vgpr_count:     15
    .vgpr_spill_count: 0
    .wavefront_size: 64
  - .agpr_count:     0
    .args:
      - .actual_access:  read_only
        .address_space:  global
        .offset:         0
        .size:           8
        .value_kind:     global_buffer
      - .actual_access:  write_only
        .address_space:  global
        .offset:         8
        .size:           8
        .value_kind:     global_buffer
    .group_segment_fixed_size: 0
    .kernarg_segment_align: 8
    .kernarg_segment_size: 16
    .language:       OpenCL C
    .language_version:
      - 2
      - 0
    .max_flat_workgroup_size: 1024
    .name:           _ZL22dequantize_block_iq1_mI6__halfEvPKvPT_
    .private_segment_fixed_size: 0
    .sgpr_count:     14
    .sgpr_spill_count: 0
    .symbol:         _ZL22dequantize_block_iq1_mI6__halfEvPKvPT_.kd
    .uniform_work_group_size: 1
    .uses_dynamic_stack: false
    .vgpr_count:     16
    .vgpr_spill_count: 0
    .wavefront_size: 64
  - .agpr_count:     0
    .args:
      - .actual_access:  read_only
        .address_space:  global
        .offset:         0
        .size:           8
        .value_kind:     global_buffer
      - .actual_access:  write_only
        .address_space:  global
        .offset:         8
        .size:           8
        .value_kind:     global_buffer
    .group_segment_fixed_size: 0
    .kernarg_segment_align: 8
    .kernarg_segment_size: 16
    .language:       OpenCL C
    .language_version:
      - 2
      - 0
    .max_flat_workgroup_size: 1024
    .name:           _ZL23dequantize_block_iq4_nlI6__halfEvPKvPT_
    .private_segment_fixed_size: 0
    .sgpr_count:     14
    .sgpr_spill_count: 0
    .symbol:         _ZL23dequantize_block_iq4_nlI6__halfEvPKvPT_.kd
    .uniform_work_group_size: 1
    .uses_dynamic_stack: false
    .vgpr_count:     21
    .vgpr_spill_count: 0
    .wavefront_size: 64
  - .agpr_count:     0
    .args:
      - .actual_access:  read_only
        .address_space:  global
        .offset:         0
        .size:           8
        .value_kind:     global_buffer
      - .actual_access:  write_only
        .address_space:  global
        .offset:         8
        .size:           8
        .value_kind:     global_buffer
    .group_segment_fixed_size: 0
    .kernarg_segment_align: 8
    .kernarg_segment_size: 16
    .language:       OpenCL C
    .language_version:
      - 2
      - 0
    .max_flat_workgroup_size: 1024
    .name:           _ZL23dequantize_block_iq4_xsI6__halfEvPKvPT_
    .private_segment_fixed_size: 0
    .sgpr_count:     14
    .sgpr_spill_count: 0
    .symbol:         _ZL23dequantize_block_iq4_xsI6__halfEvPKvPT_.kd
    .uniform_work_group_size: 1
    .uses_dynamic_stack: false
    .vgpr_count:     23
    .vgpr_spill_count: 0
    .wavefront_size: 64
  - .agpr_count:     0
    .args:
      - .actual_access:  read_only
        .address_space:  global
        .offset:         0
        .size:           8
        .value_kind:     global_buffer
      - .actual_access:  write_only
        .address_space:  global
        .offset:         8
        .size:           8
        .value_kind:     global_buffer
    .group_segment_fixed_size: 0
    .kernarg_segment_align: 8
    .kernarg_segment_size: 16
    .language:       OpenCL C
    .language_version:
      - 2
      - 0
    .max_flat_workgroup_size: 1024
    .name:           _ZL22dequantize_block_iq3_sI6__halfEvPKvPT_
    .private_segment_fixed_size: 0
    .sgpr_count:     14
    .sgpr_spill_count: 0
    .symbol:         _ZL22dequantize_block_iq3_sI6__halfEvPKvPT_.kd
    .uniform_work_group_size: 1
    .uses_dynamic_stack: false
    .vgpr_count:     19
    .vgpr_spill_count: 0
    .wavefront_size: 64
  - .agpr_count:     0
    .args:
      - .actual_access:  read_only
        .address_space:  global
        .offset:         0
        .size:           8
        .value_kind:     global_buffer
      - .actual_access:  write_only
        .address_space:  global
        .offset:         8
        .size:           8
        .value_kind:     global_buffer
    .group_segment_fixed_size: 0
    .kernarg_segment_align: 8
    .kernarg_segment_size: 16
    .language:       OpenCL C
    .language_version:
      - 2
      - 0
    .max_flat_workgroup_size: 1024
    .name:           _ZL22dequantize_block_mxfp4I6__halfEvPKvPT_
    .private_segment_fixed_size: 0
    .sgpr_count:     14
    .sgpr_spill_count: 0
    .symbol:         _ZL22dequantize_block_mxfp4I6__halfEvPKvPT_.kd
    .uniform_work_group_size: 1
    .uses_dynamic_stack: false
    .vgpr_count:     21
    .vgpr_spill_count: 0
    .wavefront_size: 64
  - .agpr_count:     0
    .args:
      - .actual_access:  read_only
        .address_space:  global
        .offset:         0
        .size:           8
        .value_kind:     global_buffer
      - .actual_access:  write_only
        .address_space:  global
        .offset:         8
        .size:           8
        .value_kind:     global_buffer
      - .offset:         16
        .size:           8
        .value_kind:     by_value
    .group_segment_fixed_size: 0
    .kernarg_segment_align: 8
    .kernarg_segment_size: 24
    .language:       OpenCL C
    .language_version:
      - 2
      - 0
    .max_flat_workgroup_size: 1024
    .name:           _ZL22dequantize_block_nvfp4I6__halfEvPKvPT_l
    .private_segment_fixed_size: 0
    .sgpr_count:     16
    .sgpr_spill_count: 0
    .symbol:         _ZL22dequantize_block_nvfp4I6__halfEvPKvPT_l.kd
    .uniform_work_group_size: 1
    .uses_dynamic_stack: false
    .vgpr_count:     7
    .vgpr_spill_count: 0
    .wavefront_size: 64
  - .agpr_count:     0
    .args:
      - .actual_access:  read_only
        .address_space:  global
        .offset:         0
        .size:           8
        .value_kind:     global_buffer
      - .actual_access:  write_only
        .address_space:  global
        .offset:         8
        .size:           8
        .value_kind:     global_buffer
      - .offset:         16
        .size:           4
        .value_kind:     by_value
    .group_segment_fixed_size: 0
    .kernarg_segment_align: 8
    .kernarg_segment_size: 20
    .language:       OpenCL C
    .language_version:
      - 2
      - 0
    .max_flat_workgroup_size: 1024
    .name:           _ZL21dequantize_block_q4_0IfEvPKvPT_i
    .private_segment_fixed_size: 0
    .sgpr_count:     14
    .sgpr_spill_count: 0
    .symbol:         _ZL21dequantize_block_q4_0IfEvPKvPT_i.kd
    .uniform_work_group_size: 1
    .uses_dynamic_stack: false
    .vgpr_count:     15
    .vgpr_spill_count: 0
    .wavefront_size: 64
  - .agpr_count:     0
    .args:
      - .actual_access:  read_only
        .address_space:  global
        .offset:         0
        .size:           8
        .value_kind:     global_buffer
      - .actual_access:  write_only
        .address_space:  global
        .offset:         8
        .size:           8
        .value_kind:     global_buffer
      - .offset:         16
        .size:           4
        .value_kind:     by_value
    .group_segment_fixed_size: 0
    .kernarg_segment_align: 8
    .kernarg_segment_size: 20
    .language:       OpenCL C
    .language_version:
      - 2
      - 0
    .max_flat_workgroup_size: 1024
    .name:           _ZL21dequantize_block_q4_1IfEvPKvPT_i
    .private_segment_fixed_size: 0
    .sgpr_count:     14
    .sgpr_spill_count: 0
    .symbol:         _ZL21dequantize_block_q4_1IfEvPKvPT_i.kd
    .uniform_work_group_size: 1
    .uses_dynamic_stack: false
    .vgpr_count:     13
    .vgpr_spill_count: 0
    .wavefront_size: 64
  - .agpr_count:     0
    .args:
      - .actual_access:  read_only
        .address_space:  global
        .offset:         0
        .size:           8
        .value_kind:     global_buffer
      - .actual_access:  write_only
        .address_space:  global
        .offset:         8
        .size:           8
        .value_kind:     global_buffer
    .group_segment_fixed_size: 0
    .kernarg_segment_align: 8
    .kernarg_segment_size: 16
    .language:       OpenCL C
    .language_version:
      - 2
      - 0
    .max_flat_workgroup_size: 1024
    .name:           _ZL21dequantize_block_q2_KIfEvPKvPT_
    .private_segment_fixed_size: 0
    .sgpr_count:     14
    .sgpr_spill_count: 0
    .symbol:         _ZL21dequantize_block_q2_KIfEvPKvPT_.kd
    .uniform_work_group_size: 1
    .uses_dynamic_stack: false
    .vgpr_count:     16
    .vgpr_spill_count: 0
    .wavefront_size: 64
  - .agpr_count:     0
    .args:
      - .actual_access:  read_only
        .address_space:  global
        .offset:         0
        .size:           8
        .value_kind:     global_buffer
      - .actual_access:  write_only
        .address_space:  global
        .offset:         8
        .size:           8
        .value_kind:     global_buffer
    .group_segment_fixed_size: 0
    .kernarg_segment_align: 8
    .kernarg_segment_size: 16
    .language:       OpenCL C
    .language_version:
      - 2
      - 0
    .max_flat_workgroup_size: 1024
    .name:           _ZL21dequantize_block_q3_KIfEvPKvPT_
    .private_segment_fixed_size: 0
    .sgpr_count:     20
    .sgpr_spill_count: 0
    .symbol:         _ZL21dequantize_block_q3_KIfEvPKvPT_.kd
    .uniform_work_group_size: 1
    .uses_dynamic_stack: false
    .vgpr_count:     18
    .vgpr_spill_count: 0
    .wavefront_size: 64
  - .agpr_count:     0
    .args:
      - .actual_access:  read_only
        .address_space:  global
        .offset:         0
        .size:           8
        .value_kind:     global_buffer
      - .actual_access:  write_only
        .address_space:  global
        .offset:         8
        .size:           8
        .value_kind:     global_buffer
    .group_segment_fixed_size: 0
    .kernarg_segment_align: 8
    .kernarg_segment_size: 16
    .language:       OpenCL C
    .language_version:
      - 2
      - 0
    .max_flat_workgroup_size: 1024
    .name:           _ZL21dequantize_block_q4_KIfEvPKvPT_
    .private_segment_fixed_size: 0
    .sgpr_count:     15
    .sgpr_spill_count: 0
    .symbol:         _ZL21dequantize_block_q4_KIfEvPKvPT_.kd
    .uniform_work_group_size: 1
    .uses_dynamic_stack: false
    .vgpr_count:     16
    .vgpr_spill_count: 0
    .wavefront_size: 64
  - .agpr_count:     0
    .args:
      - .actual_access:  read_only
        .address_space:  global
        .offset:         0
        .size:           8
        .value_kind:     global_buffer
      - .actual_access:  write_only
        .address_space:  global
        .offset:         8
        .size:           8
        .value_kind:     global_buffer
    .group_segment_fixed_size: 0
    .kernarg_segment_align: 8
    .kernarg_segment_size: 16
    .language:       OpenCL C
    .language_version:
      - 2
      - 0
    .max_flat_workgroup_size: 1024
    .name:           _ZL21dequantize_block_q5_KIfEvPKvPT_
    .private_segment_fixed_size: 0
    .sgpr_count:     15
    .sgpr_spill_count: 0
    .symbol:         _ZL21dequantize_block_q5_KIfEvPKvPT_.kd
    .uniform_work_group_size: 1
    .uses_dynamic_stack: false
    .vgpr_count:     15
    .vgpr_spill_count: 0
    .wavefront_size: 64
  - .agpr_count:     0
    .args:
      - .actual_access:  read_only
        .address_space:  global
        .offset:         0
        .size:           8
        .value_kind:     global_buffer
      - .actual_access:  write_only
        .address_space:  global
        .offset:         8
        .size:           8
        .value_kind:     global_buffer
    .group_segment_fixed_size: 0
    .kernarg_segment_align: 8
    .kernarg_segment_size: 16
    .language:       OpenCL C
    .language_version:
      - 2
      - 0
    .max_flat_workgroup_size: 1024
    .name:           _ZL21dequantize_block_q6_KIfEvPKvPT_
    .private_segment_fixed_size: 0
    .sgpr_count:     14
    .sgpr_spill_count: 0
    .symbol:         _ZL21dequantize_block_q6_KIfEvPKvPT_.kd
    .uniform_work_group_size: 1
    .uses_dynamic_stack: false
    .vgpr_count:     16
    .vgpr_spill_count: 0
    .wavefront_size: 64
  - .agpr_count:     0
    .args:
      - .actual_access:  read_only
        .address_space:  global
        .offset:         0
        .size:           8
        .value_kind:     global_buffer
      - .actual_access:  write_only
        .address_space:  global
        .offset:         8
        .size:           8
        .value_kind:     global_buffer
    .group_segment_fixed_size: 0
    .kernarg_segment_align: 8
    .kernarg_segment_size: 16
    .language:       OpenCL C
    .language_version:
      - 2
      - 0
    .max_flat_workgroup_size: 1024
    .name:           _ZL24dequantize_block_iq2_xxsIfEvPKvPT_
    .private_segment_fixed_size: 0
    .sgpr_count:     14
    .sgpr_spill_count: 0
    .symbol:         _ZL24dequantize_block_iq2_xxsIfEvPKvPT_.kd
    .uniform_work_group_size: 1
    .uses_dynamic_stack: false
    .vgpr_count:     21
    .vgpr_spill_count: 0
    .wavefront_size: 64
  - .agpr_count:     0
    .args:
      - .actual_access:  read_only
        .address_space:  global
        .offset:         0
        .size:           8
        .value_kind:     global_buffer
      - .actual_access:  write_only
        .address_space:  global
        .offset:         8
        .size:           8
        .value_kind:     global_buffer
    .group_segment_fixed_size: 0
    .kernarg_segment_align: 8
    .kernarg_segment_size: 16
    .language:       OpenCL C
    .language_version:
      - 2
      - 0
    .max_flat_workgroup_size: 1024
    .name:           _ZL23dequantize_block_iq2_xsIfEvPKvPT_
    .private_segment_fixed_size: 0
    .sgpr_count:     14
    .sgpr_spill_count: 0
    .symbol:         _ZL23dequantize_block_iq2_xsIfEvPKvPT_.kd
    .uniform_work_group_size: 1
    .uses_dynamic_stack: false
    .vgpr_count:     21
    .vgpr_spill_count: 0
    .wavefront_size: 64
  - .agpr_count:     0
    .args:
      - .actual_access:  read_only
        .address_space:  global
        .offset:         0
        .size:           8
        .value_kind:     global_buffer
      - .actual_access:  write_only
        .address_space:  global
        .offset:         8
        .size:           8
        .value_kind:     global_buffer
    .group_segment_fixed_size: 0
    .kernarg_segment_align: 8
    .kernarg_segment_size: 16
    .language:       OpenCL C
    .language_version:
      - 2
      - 0
    .max_flat_workgroup_size: 1024
    .name:           _ZL22dequantize_block_iq2_sIfEvPKvPT_
    .private_segment_fixed_size: 0
    .sgpr_count:     14
    .sgpr_spill_count: 0
    .symbol:         _ZL22dequantize_block_iq2_sIfEvPKvPT_.kd
    .uniform_work_group_size: 1
    .uses_dynamic_stack: false
    .vgpr_count:     20
    .vgpr_spill_count: 0
    .wavefront_size: 64
  - .agpr_count:     0
    .args:
      - .actual_access:  read_only
        .address_space:  global
        .offset:         0
        .size:           8
        .value_kind:     global_buffer
      - .actual_access:  write_only
        .address_space:  global
        .offset:         8
        .size:           8
        .value_kind:     global_buffer
    .group_segment_fixed_size: 0
    .kernarg_segment_align: 8
    .kernarg_segment_size: 16
    .language:       OpenCL C
    .language_version:
      - 2
      - 0
    .max_flat_workgroup_size: 1024
    .name:           _ZL24dequantize_block_iq3_xxsIfEvPKvPT_
    .private_segment_fixed_size: 0
    .sgpr_count:     14
    .sgpr_spill_count: 0
    .symbol:         _ZL24dequantize_block_iq3_xxsIfEvPKvPT_.kd
    .uniform_work_group_size: 1
    .uses_dynamic_stack: false
    .vgpr_count:     21
    .vgpr_spill_count: 0
    .wavefront_size: 64
  - .agpr_count:     0
    .args:
      - .actual_access:  read_only
        .address_space:  global
        .offset:         0
        .size:           8
        .value_kind:     global_buffer
      - .actual_access:  write_only
        .address_space:  global
        .offset:         8
        .size:           8
        .value_kind:     global_buffer
    .group_segment_fixed_size: 0
    .kernarg_segment_align: 8
    .kernarg_segment_size: 16
    .language:       OpenCL C
    .language_version:
      - 2
      - 0
    .max_flat_workgroup_size: 1024
    .name:           _ZL22dequantize_block_iq1_sIfEvPKvPT_
    .private_segment_fixed_size: 0
    .sgpr_count:     14
    .sgpr_spill_count: 0
    .symbol:         _ZL22dequantize_block_iq1_sIfEvPKvPT_.kd
    .uniform_work_group_size: 1
    .uses_dynamic_stack: false
    .vgpr_count:     15
    .vgpr_spill_count: 0
    .wavefront_size: 64
  - .agpr_count:     0
    .args:
      - .actual_access:  read_only
        .address_space:  global
        .offset:         0
        .size:           8
        .value_kind:     global_buffer
      - .actual_access:  write_only
        .address_space:  global
        .offset:         8
        .size:           8
        .value_kind:     global_buffer
    .group_segment_fixed_size: 0
    .kernarg_segment_align: 8
    .kernarg_segment_size: 16
    .language:       OpenCL C
    .language_version:
      - 2
      - 0
    .max_flat_workgroup_size: 1024
    .name:           _ZL22dequantize_block_iq1_mIfEvPKvPT_
    .private_segment_fixed_size: 0
    .sgpr_count:     14
    .sgpr_spill_count: 0
    .symbol:         _ZL22dequantize_block_iq1_mIfEvPKvPT_.kd
    .uniform_work_group_size: 1
    .uses_dynamic_stack: false
    .vgpr_count:     15
    .vgpr_spill_count: 0
    .wavefront_size: 64
  - .agpr_count:     0
    .args:
      - .actual_access:  read_only
        .address_space:  global
        .offset:         0
        .size:           8
        .value_kind:     global_buffer
      - .actual_access:  write_only
        .address_space:  global
        .offset:         8
        .size:           8
        .value_kind:     global_buffer
    .group_segment_fixed_size: 0
    .kernarg_segment_align: 8
    .kernarg_segment_size: 16
    .language:       OpenCL C
    .language_version:
      - 2
      - 0
    .max_flat_workgroup_size: 1024
    .name:           _ZL23dequantize_block_iq4_nlIfEvPKvPT_
    .private_segment_fixed_size: 0
    .sgpr_count:     14
    .sgpr_spill_count: 0
    .symbol:         _ZL23dequantize_block_iq4_nlIfEvPKvPT_.kd
    .uniform_work_group_size: 1
    .uses_dynamic_stack: false
    .vgpr_count:     24
    .vgpr_spill_count: 0
    .wavefront_size: 64
  - .agpr_count:     0
    .args:
      - .actual_access:  read_only
        .address_space:  global
        .offset:         0
        .size:           8
        .value_kind:     global_buffer
      - .actual_access:  write_only
        .address_space:  global
        .offset:         8
        .size:           8
        .value_kind:     global_buffer
    .group_segment_fixed_size: 0
    .kernarg_segment_align: 8
    .kernarg_segment_size: 16
    .language:       OpenCL C
    .language_version:
      - 2
      - 0
    .max_flat_workgroup_size: 1024
    .name:           _ZL23dequantize_block_iq4_xsIfEvPKvPT_
    .private_segment_fixed_size: 0
    .sgpr_count:     14
    .sgpr_spill_count: 0
    .symbol:         _ZL23dequantize_block_iq4_xsIfEvPKvPT_.kd
    .uniform_work_group_size: 1
    .uses_dynamic_stack: false
    .vgpr_count:     26
    .vgpr_spill_count: 0
    .wavefront_size: 64
  - .agpr_count:     0
    .args:
      - .actual_access:  read_only
        .address_space:  global
        .offset:         0
        .size:           8
        .value_kind:     global_buffer
      - .actual_access:  write_only
        .address_space:  global
        .offset:         8
        .size:           8
        .value_kind:     global_buffer
    .group_segment_fixed_size: 0
    .kernarg_segment_align: 8
    .kernarg_segment_size: 16
    .language:       OpenCL C
    .language_version:
      - 2
      - 0
    .max_flat_workgroup_size: 1024
    .name:           _ZL22dequantize_block_iq3_sIfEvPKvPT_
    .private_segment_fixed_size: 0
    .sgpr_count:     14
    .sgpr_spill_count: 0
    .symbol:         _ZL22dequantize_block_iq3_sIfEvPKvPT_.kd
    .uniform_work_group_size: 1
    .uses_dynamic_stack: false
    .vgpr_count:     21
    .vgpr_spill_count: 0
    .wavefront_size: 64
  - .agpr_count:     0
    .args:
      - .actual_access:  read_only
        .address_space:  global
        .offset:         0
        .size:           8
        .value_kind:     global_buffer
      - .actual_access:  write_only
        .address_space:  global
        .offset:         8
        .size:           8
        .value_kind:     global_buffer
    .group_segment_fixed_size: 0
    .kernarg_segment_align: 8
    .kernarg_segment_size: 16
    .language:       OpenCL C
    .language_version:
      - 2
      - 0
    .max_flat_workgroup_size: 1024
    .name:           _ZL22dequantize_block_mxfp4IfEvPKvPT_
    .private_segment_fixed_size: 0
    .sgpr_count:     14
    .sgpr_spill_count: 0
    .symbol:         _ZL22dequantize_block_mxfp4IfEvPKvPT_.kd
    .uniform_work_group_size: 1
    .uses_dynamic_stack: false
    .vgpr_count:     23
    .vgpr_spill_count: 0
    .wavefront_size: 64
  - .agpr_count:     0
    .args:
      - .actual_access:  read_only
        .address_space:  global
        .offset:         0
        .size:           8
        .value_kind:     global_buffer
      - .actual_access:  write_only
        .address_space:  global
        .offset:         8
        .size:           8
        .value_kind:     global_buffer
      - .offset:         16
        .size:           8
        .value_kind:     by_value
    .group_segment_fixed_size: 0
    .kernarg_segment_align: 8
    .kernarg_segment_size: 24
    .language:       OpenCL C
    .language_version:
      - 2
      - 0
    .max_flat_workgroup_size: 1024
    .name:           _ZL22dequantize_block_nvfp4IfEvPKvPT_l
    .private_segment_fixed_size: 0
    .sgpr_count:     16
    .sgpr_spill_count: 0
    .symbol:         _ZL22dequantize_block_nvfp4IfEvPKvPT_l.kd
    .uniform_work_group_size: 1
    .uses_dynamic_stack: false
    .vgpr_count:     7
    .vgpr_spill_count: 0
    .wavefront_size: 64
  - .agpr_count:     0
    .args:
      - .actual_access:  read_only
        .address_space:  global
        .offset:         0
        .size:           8
        .value_kind:     global_buffer
      - .actual_access:  write_only
        .address_space:  global
        .offset:         8
        .size:           8
        .value_kind:     global_buffer
      - .offset:         16
        .size:           8
        .value_kind:     by_value
      - .offset:         24
        .size:           8
        .value_kind:     by_value
      - .offset:         32
        .size:           8
        .value_kind:     by_value
      - .offset:         40
        .size:           12
        .value_kind:     by_value
      - .offset:         56
        .size:           8
        .value_kind:     by_value
      - .offset:         64
        .size:           8
        .value_kind:     by_value
      - .offset:         72
        .size:           8
        .value_kind:     by_value
      - .offset:         80
        .size:           4
        .value_kind:     hidden_block_count_x
      - .offset:         84
        .size:           4
        .value_kind:     hidden_block_count_y
      - .offset:         88
        .size:           4
        .value_kind:     hidden_block_count_z
      - .offset:         92
        .size:           2
        .value_kind:     hidden_group_size_x
      - .offset:         94
        .size:           2
        .value_kind:     hidden_group_size_y
      - .offset:         96
        .size:           2
        .value_kind:     hidden_group_size_z
      - .offset:         98
        .size:           2
        .value_kind:     hidden_remainder_x
      - .offset:         100
        .size:           2
        .value_kind:     hidden_remainder_y
      - .offset:         102
        .size:           2
        .value_kind:     hidden_remainder_z
      - .offset:         120
        .size:           8
        .value_kind:     hidden_global_offset_x
      - .offset:         128
        .size:           8
        .value_kind:     hidden_global_offset_y
      - .offset:         136
        .size:           8
        .value_kind:     hidden_global_offset_z
      - .offset:         144
        .size:           2
        .value_kind:     hidden_grid_dims
    .group_segment_fixed_size: 0
    .kernarg_segment_align: 8
    .kernarg_segment_size: 336
    .language:       OpenCL C
    .language_version:
      - 2
      - 0
    .max_flat_workgroup_size: 1024
    .name:           _ZL13convert_unaryIf6__halfEvPKvPT0_lll15HIP_vector_typeIjLj3EElll
    .private_segment_fixed_size: 0
    .sgpr_count:     93
    .sgpr_spill_count: 0
    .symbol:         _ZL13convert_unaryIf6__halfEvPKvPT0_lll15HIP_vector_typeIjLj3EElll.kd
    .uniform_work_group_size: 1
    .uses_dynamic_stack: false
    .vgpr_count:     17
    .vgpr_spill_count: 0
    .wavefront_size: 64
  - .agpr_count:     0
    .args:
      - .actual_access:  read_only
        .address_space:  global
        .offset:         0
        .size:           8
        .value_kind:     global_buffer
      - .actual_access:  write_only
        .address_space:  global
        .offset:         8
        .size:           8
        .value_kind:     global_buffer
      - .offset:         16
        .size:           8
        .value_kind:     by_value
      - .offset:         24
        .size:           8
        .value_kind:     by_value
      - .offset:         32
        .size:           8
        .value_kind:     by_value
      - .offset:         40
        .size:           12
        .value_kind:     by_value
      - .offset:         56
        .size:           8
        .value_kind:     by_value
      - .offset:         64
        .size:           8
        .value_kind:     by_value
      - .offset:         72
        .size:           8
        .value_kind:     by_value
      - .offset:         80
        .size:           4
        .value_kind:     hidden_block_count_x
      - .offset:         84
        .size:           4
        .value_kind:     hidden_block_count_y
      - .offset:         88
        .size:           4
        .value_kind:     hidden_block_count_z
      - .offset:         92
        .size:           2
        .value_kind:     hidden_group_size_x
      - .offset:         94
        .size:           2
        .value_kind:     hidden_group_size_y
      - .offset:         96
        .size:           2
        .value_kind:     hidden_group_size_z
      - .offset:         98
        .size:           2
        .value_kind:     hidden_remainder_x
      - .offset:         100
        .size:           2
        .value_kind:     hidden_remainder_y
      - .offset:         102
        .size:           2
        .value_kind:     hidden_remainder_z
      - .offset:         120
        .size:           8
        .value_kind:     hidden_global_offset_x
      - .offset:         128
        .size:           8
        .value_kind:     hidden_global_offset_y
      - .offset:         136
        .size:           8
        .value_kind:     hidden_global_offset_z
      - .offset:         144
        .size:           2
        .value_kind:     hidden_grid_dims
    .group_segment_fixed_size: 0
    .kernarg_segment_align: 8
    .kernarg_segment_size: 336
    .language:       OpenCL C
    .language_version:
      - 2
      - 0
    .max_flat_workgroup_size: 1024
    .name:           _ZL16dequantize_blockILi128ELi1EXadL_ZL15dequantize_q1_0PKvliR15HIP_vector_typeIfLj2EEEE6__halfEvS1_PT2_lllS2_IjLj3EElll
    .private_segment_fixed_size: 0
    .sgpr_count:     46
    .sgpr_spill_count: 0
    .symbol:         _ZL16dequantize_blockILi128ELi1EXadL_ZL15dequantize_q1_0PKvliR15HIP_vector_typeIfLj2EEEE6__halfEvS1_PT2_lllS2_IjLj3EElll.kd
    .uniform_work_group_size: 1
    .uses_dynamic_stack: false
    .vgpr_count:     20
    .vgpr_spill_count: 0
    .wavefront_size: 64
  - .agpr_count:     0
    .args:
      - .actual_access:  read_only
        .address_space:  global
        .offset:         0
        .size:           8
        .value_kind:     global_buffer
      - .actual_access:  write_only
        .address_space:  global
        .offset:         8
        .size:           8
        .value_kind:     global_buffer
      - .offset:         16
        .size:           8
        .value_kind:     by_value
      - .offset:         24
        .size:           8
        .value_kind:     by_value
      - .offset:         32
        .size:           8
        .value_kind:     by_value
      - .offset:         40
        .size:           12
        .value_kind:     by_value
      - .offset:         56
        .size:           8
        .value_kind:     by_value
      - .offset:         64
        .size:           8
        .value_kind:     by_value
      - .offset:         72
        .size:           8
        .value_kind:     by_value
      - .offset:         80
        .size:           4
        .value_kind:     hidden_block_count_x
      - .offset:         84
        .size:           4
        .value_kind:     hidden_block_count_y
      - .offset:         88
        .size:           4
        .value_kind:     hidden_block_count_z
      - .offset:         92
        .size:           2
        .value_kind:     hidden_group_size_x
      - .offset:         94
        .size:           2
        .value_kind:     hidden_group_size_y
      - .offset:         96
        .size:           2
        .value_kind:     hidden_group_size_z
      - .offset:         98
        .size:           2
        .value_kind:     hidden_remainder_x
      - .offset:         100
        .size:           2
        .value_kind:     hidden_remainder_y
      - .offset:         102
        .size:           2
        .value_kind:     hidden_remainder_z
      - .offset:         120
        .size:           8
        .value_kind:     hidden_global_offset_x
      - .offset:         128
        .size:           8
        .value_kind:     hidden_global_offset_y
      - .offset:         136
        .size:           8
        .value_kind:     hidden_global_offset_z
      - .offset:         144
        .size:           2
        .value_kind:     hidden_grid_dims
    .group_segment_fixed_size: 0
    .kernarg_segment_align: 8
    .kernarg_segment_size: 336
    .language:       OpenCL C
    .language_version:
      - 2
      - 0
    .max_flat_workgroup_size: 1024
    .name:           _ZL16dequantize_blockILi32ELi2EXadL_ZL15dequantize_q4_0PKvliR15HIP_vector_typeIfLj2EEEE6__halfEvS1_PT2_lllS2_IjLj3EElll
    .private_segment_fixed_size: 0
    .sgpr_count:     44
    .sgpr_spill_count: 0
    .symbol:         _ZL16dequantize_blockILi32ELi2EXadL_ZL15dequantize_q4_0PKvliR15HIP_vector_typeIfLj2EEEE6__halfEvS1_PT2_lllS2_IjLj3EElll.kd
    .uniform_work_group_size: 1
    .uses_dynamic_stack: false
    .vgpr_count:     18
    .vgpr_spill_count: 0
    .wavefront_size: 64
  - .agpr_count:     0
    .args:
      - .actual_access:  read_only
        .address_space:  global
        .offset:         0
        .size:           8
        .value_kind:     global_buffer
      - .actual_access:  write_only
        .address_space:  global
        .offset:         8
        .size:           8
        .value_kind:     global_buffer
      - .offset:         16
        .size:           8
        .value_kind:     by_value
      - .offset:         24
        .size:           8
        .value_kind:     by_value
      - .offset:         32
        .size:           8
        .value_kind:     by_value
      - .offset:         40
        .size:           12
        .value_kind:     by_value
      - .offset:         56
        .size:           8
        .value_kind:     by_value
      - .offset:         64
        .size:           8
        .value_kind:     by_value
      - .offset:         72
        .size:           8
        .value_kind:     by_value
      - .offset:         80
        .size:           4
        .value_kind:     hidden_block_count_x
      - .offset:         84
        .size:           4
        .value_kind:     hidden_block_count_y
      - .offset:         88
        .size:           4
        .value_kind:     hidden_block_count_z
      - .offset:         92
        .size:           2
        .value_kind:     hidden_group_size_x
      - .offset:         94
        .size:           2
        .value_kind:     hidden_group_size_y
      - .offset:         96
        .size:           2
        .value_kind:     hidden_group_size_z
      - .offset:         98
        .size:           2
        .value_kind:     hidden_remainder_x
      - .offset:         100
        .size:           2
        .value_kind:     hidden_remainder_y
      - .offset:         102
        .size:           2
        .value_kind:     hidden_remainder_z
      - .offset:         120
        .size:           8
        .value_kind:     hidden_global_offset_x
      - .offset:         128
        .size:           8
        .value_kind:     hidden_global_offset_y
      - .offset:         136
        .size:           8
        .value_kind:     hidden_global_offset_z
      - .offset:         144
        .size:           2
        .value_kind:     hidden_grid_dims
    .group_segment_fixed_size: 0
    .kernarg_segment_align: 8
    .kernarg_segment_size: 336
    .language:       OpenCL C
    .language_version:
      - 2
      - 0
    .max_flat_workgroup_size: 1024
    .name:           _ZL16dequantize_blockILi32ELi2EXadL_ZL15dequantize_q4_1PKvliR15HIP_vector_typeIfLj2EEEE6__halfEvS1_PT2_lllS2_IjLj3EElll
    .private_segment_fixed_size: 0
    .sgpr_count:     44
    .sgpr_spill_count: 0
    .symbol:         _ZL16dequantize_blockILi32ELi2EXadL_ZL15dequantize_q4_1PKvliR15HIP_vector_typeIfLj2EEEE6__halfEvS1_PT2_lllS2_IjLj3EElll.kd
    .uniform_work_group_size: 1
    .uses_dynamic_stack: false
    .vgpr_count:     18
    .vgpr_spill_count: 0
    .wavefront_size: 64
  - .agpr_count:     0
    .args:
      - .actual_access:  read_only
        .address_space:  global
        .offset:         0
        .size:           8
        .value_kind:     global_buffer
      - .actual_access:  write_only
        .address_space:  global
        .offset:         8
        .size:           8
        .value_kind:     global_buffer
      - .offset:         16
        .size:           8
        .value_kind:     by_value
      - .offset:         24
        .size:           8
        .value_kind:     by_value
      - .offset:         32
        .size:           8
        .value_kind:     by_value
      - .offset:         40
        .size:           12
        .value_kind:     by_value
      - .offset:         56
        .size:           8
        .value_kind:     by_value
      - .offset:         64
        .size:           8
        .value_kind:     by_value
      - .offset:         72
        .size:           8
        .value_kind:     by_value
      - .offset:         80
        .size:           4
        .value_kind:     hidden_block_count_x
      - .offset:         84
        .size:           4
        .value_kind:     hidden_block_count_y
      - .offset:         88
        .size:           4
        .value_kind:     hidden_block_count_z
      - .offset:         92
        .size:           2
        .value_kind:     hidden_group_size_x
      - .offset:         94
        .size:           2
        .value_kind:     hidden_group_size_y
      - .offset:         96
        .size:           2
        .value_kind:     hidden_group_size_z
      - .offset:         98
        .size:           2
        .value_kind:     hidden_remainder_x
      - .offset:         100
        .size:           2
        .value_kind:     hidden_remainder_y
      - .offset:         102
        .size:           2
        .value_kind:     hidden_remainder_z
      - .offset:         120
        .size:           8
        .value_kind:     hidden_global_offset_x
      - .offset:         128
        .size:           8
        .value_kind:     hidden_global_offset_y
      - .offset:         136
        .size:           8
        .value_kind:     hidden_global_offset_z
      - .offset:         144
        .size:           2
        .value_kind:     hidden_grid_dims
    .group_segment_fixed_size: 0
    .kernarg_segment_align: 8
    .kernarg_segment_size: 336
    .language:       OpenCL C
    .language_version:
      - 2
      - 0
    .max_flat_workgroup_size: 1024
    .name:           _ZL16dequantize_blockILi32ELi2EXadL_ZL15dequantize_q5_0PKvliR15HIP_vector_typeIfLj2EEEE6__halfEvS1_PT2_lllS2_IjLj3EElll
    .private_segment_fixed_size: 0
    .sgpr_count:     45
    .sgpr_spill_count: 0
    .symbol:         _ZL16dequantize_blockILi32ELi2EXadL_ZL15dequantize_q5_0PKvliR15HIP_vector_typeIfLj2EEEE6__halfEvS1_PT2_lllS2_IjLj3EElll.kd
    .uniform_work_group_size: 1
    .uses_dynamic_stack: false
    .vgpr_count:     18
    .vgpr_spill_count: 0
    .wavefront_size: 64
  - .agpr_count:     0
    .args:
      - .actual_access:  read_only
        .address_space:  global
        .offset:         0
        .size:           8
        .value_kind:     global_buffer
      - .actual_access:  write_only
        .address_space:  global
        .offset:         8
        .size:           8
        .value_kind:     global_buffer
      - .offset:         16
        .size:           8
        .value_kind:     by_value
      - .offset:         24
        .size:           8
        .value_kind:     by_value
      - .offset:         32
        .size:           8
        .value_kind:     by_value
      - .offset:         40
        .size:           12
        .value_kind:     by_value
      - .offset:         56
        .size:           8
        .value_kind:     by_value
      - .offset:         64
        .size:           8
        .value_kind:     by_value
      - .offset:         72
        .size:           8
        .value_kind:     by_value
      - .offset:         80
        .size:           4
        .value_kind:     hidden_block_count_x
      - .offset:         84
        .size:           4
        .value_kind:     hidden_block_count_y
      - .offset:         88
        .size:           4
        .value_kind:     hidden_block_count_z
      - .offset:         92
        .size:           2
        .value_kind:     hidden_group_size_x
      - .offset:         94
        .size:           2
        .value_kind:     hidden_group_size_y
      - .offset:         96
        .size:           2
        .value_kind:     hidden_group_size_z
      - .offset:         98
        .size:           2
        .value_kind:     hidden_remainder_x
      - .offset:         100
        .size:           2
        .value_kind:     hidden_remainder_y
      - .offset:         102
        .size:           2
        .value_kind:     hidden_remainder_z
      - .offset:         120
        .size:           8
        .value_kind:     hidden_global_offset_x
      - .offset:         128
        .size:           8
        .value_kind:     hidden_global_offset_y
      - .offset:         136
        .size:           8
        .value_kind:     hidden_global_offset_z
      - .offset:         144
        .size:           2
        .value_kind:     hidden_grid_dims
    .group_segment_fixed_size: 0
    .kernarg_segment_align: 8
    .kernarg_segment_size: 336
    .language:       OpenCL C
    .language_version:
      - 2
      - 0
    .max_flat_workgroup_size: 1024
    .name:           _ZL16dequantize_blockILi32ELi2EXadL_ZL15dequantize_q5_1PKvliR15HIP_vector_typeIfLj2EEEE6__halfEvS1_PT2_lllS2_IjLj3EElll
    .private_segment_fixed_size: 0
    .sgpr_count:     44
    .sgpr_spill_count: 0
    .symbol:         _ZL16dequantize_blockILi32ELi2EXadL_ZL15dequantize_q5_1PKvliR15HIP_vector_typeIfLj2EEEE6__halfEvS1_PT2_lllS2_IjLj3EElll.kd
    .uniform_work_group_size: 1
    .uses_dynamic_stack: false
    .vgpr_count:     21
    .vgpr_spill_count: 0
    .wavefront_size: 64
  - .agpr_count:     0
    .args:
      - .actual_access:  read_only
        .address_space:  global
        .offset:         0
        .size:           8
        .value_kind:     global_buffer
      - .actual_access:  write_only
        .address_space:  global
        .offset:         8
        .size:           8
        .value_kind:     global_buffer
      - .offset:         16
        .size:           8
        .value_kind:     by_value
      - .offset:         24
        .size:           8
        .value_kind:     by_value
      - .offset:         32
        .size:           8
        .value_kind:     by_value
      - .offset:         40
        .size:           12
        .value_kind:     by_value
      - .offset:         56
        .size:           8
        .value_kind:     by_value
      - .offset:         64
        .size:           8
        .value_kind:     by_value
      - .offset:         72
        .size:           8
        .value_kind:     by_value
      - .offset:         80
        .size:           4
        .value_kind:     hidden_block_count_x
      - .offset:         84
        .size:           4
        .value_kind:     hidden_block_count_y
      - .offset:         88
        .size:           4
        .value_kind:     hidden_block_count_z
      - .offset:         92
        .size:           2
        .value_kind:     hidden_group_size_x
      - .offset:         94
        .size:           2
        .value_kind:     hidden_group_size_y
      - .offset:         96
        .size:           2
        .value_kind:     hidden_group_size_z
      - .offset:         98
        .size:           2
        .value_kind:     hidden_remainder_x
      - .offset:         100
        .size:           2
        .value_kind:     hidden_remainder_y
      - .offset:         102
        .size:           2
        .value_kind:     hidden_remainder_z
      - .offset:         120
        .size:           8
        .value_kind:     hidden_global_offset_x
      - .offset:         128
        .size:           8
        .value_kind:     hidden_global_offset_y
      - .offset:         136
        .size:           8
        .value_kind:     hidden_global_offset_z
      - .offset:         144
        .size:           2
        .value_kind:     hidden_grid_dims
    .group_segment_fixed_size: 0
    .kernarg_segment_align: 8
    .kernarg_segment_size: 336
    .language:       OpenCL C
    .language_version:
      - 2
      - 0
    .max_flat_workgroup_size: 1024
    .name:           _ZL16dequantize_blockILi32ELi1EXadL_ZL15dequantize_q8_0PKvliR15HIP_vector_typeIfLj2EEEE6__halfEvS1_PT2_lllS2_IjLj3EElll
    .private_segment_fixed_size: 0
    .sgpr_count:     46
    .sgpr_spill_count: 0
    .symbol:         _ZL16dequantize_blockILi32ELi1EXadL_ZL15dequantize_q8_0PKvliR15HIP_vector_typeIfLj2EEEE6__halfEvS1_PT2_lllS2_IjLj3EElll.kd
    .uniform_work_group_size: 1
    .uses_dynamic_stack: false
    .vgpr_count:     18
    .vgpr_spill_count: 0
    .wavefront_size: 64
  - .agpr_count:     0
    .args:
      - .actual_access:  read_only
        .address_space:  global
        .offset:         0
        .size:           8
        .value_kind:     global_buffer
      - .actual_access:  write_only
        .address_space:  global
        .offset:         8
        .size:           8
        .value_kind:     global_buffer
      - .offset:         16
        .size:           8
        .value_kind:     by_value
      - .offset:         24
        .size:           8
        .value_kind:     by_value
      - .offset:         32
        .size:           8
        .value_kind:     by_value
      - .offset:         40
        .size:           12
        .value_kind:     by_value
      - .offset:         56
        .size:           8
        .value_kind:     by_value
      - .offset:         64
        .size:           8
        .value_kind:     by_value
      - .offset:         72
        .size:           8
        .value_kind:     by_value
      - .offset:         80
        .size:           4
        .value_kind:     hidden_block_count_x
      - .offset:         84
        .size:           4
        .value_kind:     hidden_block_count_y
      - .offset:         88
        .size:           4
        .value_kind:     hidden_block_count_z
      - .offset:         92
        .size:           2
        .value_kind:     hidden_group_size_x
      - .offset:         94
        .size:           2
        .value_kind:     hidden_group_size_y
      - .offset:         96
        .size:           2
        .value_kind:     hidden_group_size_z
      - .offset:         98
        .size:           2
        .value_kind:     hidden_remainder_x
      - .offset:         100
        .size:           2
        .value_kind:     hidden_remainder_y
      - .offset:         102
        .size:           2
        .value_kind:     hidden_remainder_z
      - .offset:         120
        .size:           8
        .value_kind:     hidden_global_offset_x
      - .offset:         128
        .size:           8
        .value_kind:     hidden_global_offset_y
      - .offset:         136
        .size:           8
        .value_kind:     hidden_global_offset_z
      - .offset:         144
        .size:           2
        .value_kind:     hidden_grid_dims
    .group_segment_fixed_size: 0
    .kernarg_segment_align: 8
    .kernarg_segment_size: 336
    .language:       OpenCL C
    .language_version:
      - 2
      - 0
    .max_flat_workgroup_size: 1024
    .name:           _ZL13convert_unaryI14__hip_bfloat166__halfEvPKvPT0_lll15HIP_vector_typeIjLj3EElll
    .private_segment_fixed_size: 0
    .sgpr_count:     106
    .sgpr_spill_count: 36
    .symbol:         _ZL13convert_unaryI14__hip_bfloat166__halfEvPKvPT0_lll15HIP_vector_typeIjLj3EElll.kd
    .uniform_work_group_size: 1
    .uses_dynamic_stack: false
    .vgpr_count:     24
    .vgpr_spill_count: 0
    .wavefront_size: 64
  - .agpr_count:     0
    .args:
      - .actual_access:  read_only
        .address_space:  global
        .offset:         0
        .size:           8
        .value_kind:     global_buffer
      - .actual_access:  write_only
        .address_space:  global
        .offset:         8
        .size:           8
        .value_kind:     global_buffer
      - .offset:         16
        .size:           8
        .value_kind:     by_value
      - .offset:         24
        .size:           8
        .value_kind:     by_value
      - .offset:         32
        .size:           8
        .value_kind:     by_value
      - .offset:         40
        .size:           12
        .value_kind:     by_value
      - .offset:         56
        .size:           8
        .value_kind:     by_value
      - .offset:         64
        .size:           8
        .value_kind:     by_value
      - .offset:         72
        .size:           8
        .value_kind:     by_value
      - .offset:         80
        .size:           4
        .value_kind:     hidden_block_count_x
      - .offset:         84
        .size:           4
        .value_kind:     hidden_block_count_y
      - .offset:         88
        .size:           4
        .value_kind:     hidden_block_count_z
      - .offset:         92
        .size:           2
        .value_kind:     hidden_group_size_x
      - .offset:         94
        .size:           2
        .value_kind:     hidden_group_size_y
      - .offset:         96
        .size:           2
        .value_kind:     hidden_group_size_z
      - .offset:         98
        .size:           2
        .value_kind:     hidden_remainder_x
      - .offset:         100
        .size:           2
        .value_kind:     hidden_remainder_y
      - .offset:         102
        .size:           2
        .value_kind:     hidden_remainder_z
      - .offset:         120
        .size:           8
        .value_kind:     hidden_global_offset_x
      - .offset:         128
        .size:           8
        .value_kind:     hidden_global_offset_y
      - .offset:         136
        .size:           8
        .value_kind:     hidden_global_offset_z
      - .offset:         144
        .size:           2
        .value_kind:     hidden_grid_dims
    .group_segment_fixed_size: 0
    .kernarg_segment_align: 8
    .kernarg_segment_size: 336
    .language:       OpenCL C
    .language_version:
      - 2
      - 0
    .max_flat_workgroup_size: 1024
    .name:           _ZL13convert_unaryIf14__hip_bfloat16EvPKvPT0_lll15HIP_vector_typeIjLj3EElll
    .private_segment_fixed_size: 0
    .sgpr_count:     95
    .sgpr_spill_count: 0
    .symbol:         _ZL13convert_unaryIf14__hip_bfloat16EvPKvPT0_lll15HIP_vector_typeIjLj3EElll.kd
    .uniform_work_group_size: 1
    .uses_dynamic_stack: false
    .vgpr_count:     22
    .vgpr_spill_count: 0
    .wavefront_size: 64
  - .agpr_count:     0
    .args:
      - .actual_access:  read_only
        .address_space:  global
        .offset:         0
        .size:           8
        .value_kind:     global_buffer
      - .actual_access:  write_only
        .address_space:  global
        .offset:         8
        .size:           8
        .value_kind:     global_buffer
      - .offset:         16
        .size:           8
        .value_kind:     by_value
      - .offset:         24
        .size:           8
        .value_kind:     by_value
      - .offset:         32
        .size:           8
        .value_kind:     by_value
      - .offset:         40
        .size:           12
        .value_kind:     by_value
      - .offset:         56
        .size:           8
        .value_kind:     by_value
      - .offset:         64
        .size:           8
        .value_kind:     by_value
      - .offset:         72
        .size:           8
        .value_kind:     by_value
      - .offset:         80
        .size:           4
        .value_kind:     hidden_block_count_x
      - .offset:         84
        .size:           4
        .value_kind:     hidden_block_count_y
      - .offset:         88
        .size:           4
        .value_kind:     hidden_block_count_z
      - .offset:         92
        .size:           2
        .value_kind:     hidden_group_size_x
      - .offset:         94
        .size:           2
        .value_kind:     hidden_group_size_y
      - .offset:         96
        .size:           2
        .value_kind:     hidden_group_size_z
      - .offset:         98
        .size:           2
        .value_kind:     hidden_remainder_x
      - .offset:         100
        .size:           2
        .value_kind:     hidden_remainder_y
      - .offset:         102
        .size:           2
        .value_kind:     hidden_remainder_z
      - .offset:         120
        .size:           8
        .value_kind:     hidden_global_offset_x
      - .offset:         128
        .size:           8
        .value_kind:     hidden_global_offset_y
      - .offset:         136
        .size:           8
        .value_kind:     hidden_global_offset_z
      - .offset:         144
        .size:           2
        .value_kind:     hidden_grid_dims
    .group_segment_fixed_size: 0
    .kernarg_segment_align: 8
    .kernarg_segment_size: 336
    .language:       OpenCL C
    .language_version:
      - 2
      - 0
    .max_flat_workgroup_size: 1024
    .name:           _ZL16dequantize_blockILi128ELi1EXadL_ZL15dequantize_q1_0PKvliR15HIP_vector_typeIfLj2EEEE14__hip_bfloat16EvS1_PT2_lllS2_IjLj3EElll
    .private_segment_fixed_size: 0
    .sgpr_count:     45
    .sgpr_spill_count: 0
    .symbol:         _ZL16dequantize_blockILi128ELi1EXadL_ZL15dequantize_q1_0PKvliR15HIP_vector_typeIfLj2EEEE14__hip_bfloat16EvS1_PT2_lllS2_IjLj3EElll.kd
    .uniform_work_group_size: 1
    .uses_dynamic_stack: false
    .vgpr_count:     20
    .vgpr_spill_count: 0
    .wavefront_size: 64
  - .agpr_count:     0
    .args:
      - .actual_access:  read_only
        .address_space:  global
        .offset:         0
        .size:           8
        .value_kind:     global_buffer
      - .actual_access:  write_only
        .address_space:  global
        .offset:         8
        .size:           8
        .value_kind:     global_buffer
      - .offset:         16
        .size:           8
        .value_kind:     by_value
      - .offset:         24
        .size:           8
        .value_kind:     by_value
      - .offset:         32
        .size:           8
        .value_kind:     by_value
      - .offset:         40
        .size:           12
        .value_kind:     by_value
      - .offset:         56
        .size:           8
        .value_kind:     by_value
      - .offset:         64
        .size:           8
        .value_kind:     by_value
      - .offset:         72
        .size:           8
        .value_kind:     by_value
      - .offset:         80
        .size:           4
        .value_kind:     hidden_block_count_x
      - .offset:         84
        .size:           4
        .value_kind:     hidden_block_count_y
      - .offset:         88
        .size:           4
        .value_kind:     hidden_block_count_z
      - .offset:         92
        .size:           2
        .value_kind:     hidden_group_size_x
      - .offset:         94
        .size:           2
        .value_kind:     hidden_group_size_y
      - .offset:         96
        .size:           2
        .value_kind:     hidden_group_size_z
      - .offset:         98
        .size:           2
        .value_kind:     hidden_remainder_x
      - .offset:         100
        .size:           2
        .value_kind:     hidden_remainder_y
      - .offset:         102
        .size:           2
        .value_kind:     hidden_remainder_z
      - .offset:         120
        .size:           8
        .value_kind:     hidden_global_offset_x
      - .offset:         128
        .size:           8
        .value_kind:     hidden_global_offset_y
      - .offset:         136
        .size:           8
        .value_kind:     hidden_global_offset_z
      - .offset:         144
        .size:           2
        .value_kind:     hidden_grid_dims
    .group_segment_fixed_size: 0
    .kernarg_segment_align: 8
    .kernarg_segment_size: 336
    .language:       OpenCL C
    .language_version:
      - 2
      - 0
    .max_flat_workgroup_size: 1024
    .name:           _ZL16dequantize_blockILi32ELi2EXadL_ZL15dequantize_q4_0PKvliR15HIP_vector_typeIfLj2EEEE14__hip_bfloat16EvS1_PT2_lllS2_IjLj3EElll
    .private_segment_fixed_size: 0
    .sgpr_count:     45
    .sgpr_spill_count: 0
    .symbol:         _ZL16dequantize_blockILi32ELi2EXadL_ZL15dequantize_q4_0PKvliR15HIP_vector_typeIfLj2EEEE14__hip_bfloat16EvS1_PT2_lllS2_IjLj3EElll.kd
    .uniform_work_group_size: 1
    .uses_dynamic_stack: false
    .vgpr_count:     18
    .vgpr_spill_count: 0
    .wavefront_size: 64
  - .agpr_count:     0
    .args:
      - .actual_access:  read_only
        .address_space:  global
        .offset:         0
        .size:           8
        .value_kind:     global_buffer
      - .actual_access:  write_only
        .address_space:  global
        .offset:         8
        .size:           8
        .value_kind:     global_buffer
      - .offset:         16
        .size:           8
        .value_kind:     by_value
      - .offset:         24
        .size:           8
        .value_kind:     by_value
      - .offset:         32
        .size:           8
        .value_kind:     by_value
      - .offset:         40
        .size:           12
        .value_kind:     by_value
      - .offset:         56
        .size:           8
        .value_kind:     by_value
      - .offset:         64
        .size:           8
        .value_kind:     by_value
      - .offset:         72
        .size:           8
        .value_kind:     by_value
      - .offset:         80
        .size:           4
        .value_kind:     hidden_block_count_x
      - .offset:         84
        .size:           4
        .value_kind:     hidden_block_count_y
      - .offset:         88
        .size:           4
        .value_kind:     hidden_block_count_z
      - .offset:         92
        .size:           2
        .value_kind:     hidden_group_size_x
      - .offset:         94
        .size:           2
        .value_kind:     hidden_group_size_y
      - .offset:         96
        .size:           2
        .value_kind:     hidden_group_size_z
      - .offset:         98
        .size:           2
        .value_kind:     hidden_remainder_x
      - .offset:         100
        .size:           2
        .value_kind:     hidden_remainder_y
      - .offset:         102
        .size:           2
        .value_kind:     hidden_remainder_z
      - .offset:         120
        .size:           8
        .value_kind:     hidden_global_offset_x
      - .offset:         128
        .size:           8
        .value_kind:     hidden_global_offset_y
      - .offset:         136
        .size:           8
        .value_kind:     hidden_global_offset_z
      - .offset:         144
        .size:           2
        .value_kind:     hidden_grid_dims
    .group_segment_fixed_size: 0
    .kernarg_segment_align: 8
    .kernarg_segment_size: 336
    .language:       OpenCL C
    .language_version:
      - 2
      - 0
    .max_flat_workgroup_size: 1024
    .name:           _ZL16dequantize_blockILi32ELi2EXadL_ZL15dequantize_q4_1PKvliR15HIP_vector_typeIfLj2EEEE14__hip_bfloat16EvS1_PT2_lllS2_IjLj3EElll
    .private_segment_fixed_size: 0
    .sgpr_count:     45
    .sgpr_spill_count: 0
    .symbol:         _ZL16dequantize_blockILi32ELi2EXadL_ZL15dequantize_q4_1PKvliR15HIP_vector_typeIfLj2EEEE14__hip_bfloat16EvS1_PT2_lllS2_IjLj3EElll.kd
    .uniform_work_group_size: 1
    .uses_dynamic_stack: false
    .vgpr_count:     18
    .vgpr_spill_count: 0
    .wavefront_size: 64
  - .agpr_count:     0
    .args:
      - .actual_access:  read_only
        .address_space:  global
        .offset:         0
        .size:           8
        .value_kind:     global_buffer
      - .actual_access:  write_only
        .address_space:  global
        .offset:         8
        .size:           8
        .value_kind:     global_buffer
      - .offset:         16
        .size:           8
        .value_kind:     by_value
      - .offset:         24
        .size:           8
        .value_kind:     by_value
      - .offset:         32
        .size:           8
        .value_kind:     by_value
      - .offset:         40
        .size:           12
        .value_kind:     by_value
      - .offset:         56
        .size:           8
        .value_kind:     by_value
      - .offset:         64
        .size:           8
        .value_kind:     by_value
      - .offset:         72
        .size:           8
        .value_kind:     by_value
      - .offset:         80
        .size:           4
        .value_kind:     hidden_block_count_x
      - .offset:         84
        .size:           4
        .value_kind:     hidden_block_count_y
      - .offset:         88
        .size:           4
        .value_kind:     hidden_block_count_z
      - .offset:         92
        .size:           2
        .value_kind:     hidden_group_size_x
      - .offset:         94
        .size:           2
        .value_kind:     hidden_group_size_y
      - .offset:         96
        .size:           2
        .value_kind:     hidden_group_size_z
      - .offset:         98
        .size:           2
        .value_kind:     hidden_remainder_x
      - .offset:         100
        .size:           2
        .value_kind:     hidden_remainder_y
      - .offset:         102
        .size:           2
        .value_kind:     hidden_remainder_z
      - .offset:         120
        .size:           8
        .value_kind:     hidden_global_offset_x
      - .offset:         128
        .size:           8
        .value_kind:     hidden_global_offset_y
      - .offset:         136
        .size:           8
        .value_kind:     hidden_global_offset_z
      - .offset:         144
        .size:           2
        .value_kind:     hidden_grid_dims
    .group_segment_fixed_size: 0
    .kernarg_segment_align: 8
    .kernarg_segment_size: 336
    .language:       OpenCL C
    .language_version:
      - 2
      - 0
    .max_flat_workgroup_size: 1024
    .name:           _ZL16dequantize_blockILi32ELi2EXadL_ZL15dequantize_q5_0PKvliR15HIP_vector_typeIfLj2EEEE14__hip_bfloat16EvS1_PT2_lllS2_IjLj3EElll
    .private_segment_fixed_size: 0
    .sgpr_count:     46
    .sgpr_spill_count: 0
    .symbol:         _ZL16dequantize_blockILi32ELi2EXadL_ZL15dequantize_q5_0PKvliR15HIP_vector_typeIfLj2EEEE14__hip_bfloat16EvS1_PT2_lllS2_IjLj3EElll.kd
    .uniform_work_group_size: 1
    .uses_dynamic_stack: false
    .vgpr_count:     18
    .vgpr_spill_count: 0
    .wavefront_size: 64
  - .agpr_count:     0
    .args:
      - .actual_access:  read_only
        .address_space:  global
        .offset:         0
        .size:           8
        .value_kind:     global_buffer
      - .actual_access:  write_only
        .address_space:  global
        .offset:         8
        .size:           8
        .value_kind:     global_buffer
      - .offset:         16
        .size:           8
        .value_kind:     by_value
      - .offset:         24
        .size:           8
        .value_kind:     by_value
      - .offset:         32
        .size:           8
        .value_kind:     by_value
      - .offset:         40
        .size:           12
        .value_kind:     by_value
      - .offset:         56
        .size:           8
        .value_kind:     by_value
      - .offset:         64
        .size:           8
        .value_kind:     by_value
      - .offset:         72
        .size:           8
        .value_kind:     by_value
      - .offset:         80
        .size:           4
        .value_kind:     hidden_block_count_x
      - .offset:         84
        .size:           4
        .value_kind:     hidden_block_count_y
      - .offset:         88
        .size:           4
        .value_kind:     hidden_block_count_z
      - .offset:         92
        .size:           2
        .value_kind:     hidden_group_size_x
      - .offset:         94
        .size:           2
        .value_kind:     hidden_group_size_y
      - .offset:         96
        .size:           2
        .value_kind:     hidden_group_size_z
      - .offset:         98
        .size:           2
        .value_kind:     hidden_remainder_x
      - .offset:         100
        .size:           2
        .value_kind:     hidden_remainder_y
      - .offset:         102
        .size:           2
        .value_kind:     hidden_remainder_z
      - .offset:         120
        .size:           8
        .value_kind:     hidden_global_offset_x
      - .offset:         128
        .size:           8
        .value_kind:     hidden_global_offset_y
      - .offset:         136
        .size:           8
        .value_kind:     hidden_global_offset_z
      - .offset:         144
        .size:           2
        .value_kind:     hidden_grid_dims
    .group_segment_fixed_size: 0
    .kernarg_segment_align: 8
    .kernarg_segment_size: 336
    .language:       OpenCL C
    .language_version:
      - 2
      - 0
    .max_flat_workgroup_size: 1024
    .name:           _ZL16dequantize_blockILi32ELi2EXadL_ZL15dequantize_q5_1PKvliR15HIP_vector_typeIfLj2EEEE14__hip_bfloat16EvS1_PT2_lllS2_IjLj3EElll
    .private_segment_fixed_size: 0
    .sgpr_count:     45
    .sgpr_spill_count: 0
    .symbol:         _ZL16dequantize_blockILi32ELi2EXadL_ZL15dequantize_q5_1PKvliR15HIP_vector_typeIfLj2EEEE14__hip_bfloat16EvS1_PT2_lllS2_IjLj3EElll.kd
    .uniform_work_group_size: 1
    .uses_dynamic_stack: false
    .vgpr_count:     21
    .vgpr_spill_count: 0
    .wavefront_size: 64
  - .agpr_count:     0
    .args:
      - .actual_access:  read_only
        .address_space:  global
        .offset:         0
        .size:           8
        .value_kind:     global_buffer
      - .actual_access:  write_only
        .address_space:  global
        .offset:         8
        .size:           8
        .value_kind:     global_buffer
      - .offset:         16
        .size:           8
        .value_kind:     by_value
      - .offset:         24
        .size:           8
        .value_kind:     by_value
      - .offset:         32
        .size:           8
        .value_kind:     by_value
      - .offset:         40
        .size:           12
        .value_kind:     by_value
      - .offset:         56
        .size:           8
        .value_kind:     by_value
      - .offset:         64
        .size:           8
        .value_kind:     by_value
      - .offset:         72
        .size:           8
        .value_kind:     by_value
      - .offset:         80
        .size:           4
        .value_kind:     hidden_block_count_x
      - .offset:         84
        .size:           4
        .value_kind:     hidden_block_count_y
      - .offset:         88
        .size:           4
        .value_kind:     hidden_block_count_z
      - .offset:         92
        .size:           2
        .value_kind:     hidden_group_size_x
      - .offset:         94
        .size:           2
        .value_kind:     hidden_group_size_y
      - .offset:         96
        .size:           2
        .value_kind:     hidden_group_size_z
      - .offset:         98
        .size:           2
        .value_kind:     hidden_remainder_x
      - .offset:         100
        .size:           2
        .value_kind:     hidden_remainder_y
      - .offset:         102
        .size:           2
        .value_kind:     hidden_remainder_z
      - .offset:         120
        .size:           8
        .value_kind:     hidden_global_offset_x
      - .offset:         128
        .size:           8
        .value_kind:     hidden_global_offset_y
      - .offset:         136
        .size:           8
        .value_kind:     hidden_global_offset_z
      - .offset:         144
        .size:           2
        .value_kind:     hidden_grid_dims
    .group_segment_fixed_size: 0
    .kernarg_segment_align: 8
    .kernarg_segment_size: 336
    .language:       OpenCL C
    .language_version:
      - 2
      - 0
    .max_flat_workgroup_size: 1024
    .name:           _ZL16dequantize_blockILi32ELi1EXadL_ZL15dequantize_q8_0PKvliR15HIP_vector_typeIfLj2EEEE14__hip_bfloat16EvS1_PT2_lllS2_IjLj3EElll
    .private_segment_fixed_size: 0
    .sgpr_count:     45
    .sgpr_spill_count: 0
    .symbol:         _ZL16dequantize_blockILi32ELi1EXadL_ZL15dequantize_q8_0PKvliR15HIP_vector_typeIfLj2EEEE14__hip_bfloat16EvS1_PT2_lllS2_IjLj3EElll.kd
    .uniform_work_group_size: 1
    .uses_dynamic_stack: false
    .vgpr_count:     18
    .vgpr_spill_count: 0
    .wavefront_size: 64
  - .agpr_count:     0
    .args:
      - .actual_access:  read_only
        .address_space:  global
        .offset:         0
        .size:           8
        .value_kind:     global_buffer
      - .actual_access:  write_only
        .address_space:  global
        .offset:         8
        .size:           8
        .value_kind:     global_buffer
      - .offset:         16
        .size:           8
        .value_kind:     by_value
      - .offset:         24
        .size:           8
        .value_kind:     by_value
      - .offset:         32
        .size:           8
        .value_kind:     by_value
      - .offset:         40
        .size:           12
        .value_kind:     by_value
      - .offset:         56
        .size:           8
        .value_kind:     by_value
      - .offset:         64
        .size:           8
        .value_kind:     by_value
      - .offset:         72
        .size:           8
        .value_kind:     by_value
      - .offset:         80
        .size:           4
        .value_kind:     hidden_block_count_x
      - .offset:         84
        .size:           4
        .value_kind:     hidden_block_count_y
      - .offset:         88
        .size:           4
        .value_kind:     hidden_block_count_z
      - .offset:         92
        .size:           2
        .value_kind:     hidden_group_size_x
      - .offset:         94
        .size:           2
        .value_kind:     hidden_group_size_y
      - .offset:         96
        .size:           2
        .value_kind:     hidden_group_size_z
      - .offset:         98
        .size:           2
        .value_kind:     hidden_remainder_x
      - .offset:         100
        .size:           2
        .value_kind:     hidden_remainder_y
      - .offset:         102
        .size:           2
        .value_kind:     hidden_remainder_z
      - .offset:         120
        .size:           8
        .value_kind:     hidden_global_offset_x
      - .offset:         128
        .size:           8
        .value_kind:     hidden_global_offset_y
      - .offset:         136
        .size:           8
        .value_kind:     hidden_global_offset_z
      - .offset:         144
        .size:           2
        .value_kind:     hidden_grid_dims
    .group_segment_fixed_size: 0
    .kernarg_segment_align: 8
    .kernarg_segment_size: 336
    .language:       OpenCL C
    .language_version:
      - 2
      - 0
    .max_flat_workgroup_size: 1024
    .name:           _ZL13convert_unaryI6__half14__hip_bfloat16EvPKvPT0_lll15HIP_vector_typeIjLj3EElll
    .private_segment_fixed_size: 0
    .sgpr_count:     106
    .sgpr_spill_count: 40
    .symbol:         _ZL13convert_unaryI6__half14__hip_bfloat16EvPKvPT0_lll15HIP_vector_typeIjLj3EElll.kd
    .uniform_work_group_size: 1
    .uses_dynamic_stack: false
    .vgpr_count:     29
    .vgpr_spill_count: 0
    .wavefront_size: 64
  - .agpr_count:     0
    .args:
      - .actual_access:  read_only
        .address_space:  global
        .offset:         0
        .size:           8
        .value_kind:     global_buffer
      - .actual_access:  write_only
        .address_space:  global
        .offset:         8
        .size:           8
        .value_kind:     global_buffer
      - .offset:         16
        .size:           8
        .value_kind:     by_value
      - .offset:         24
        .size:           8
        .value_kind:     by_value
      - .offset:         32
        .size:           8
        .value_kind:     by_value
      - .offset:         40
        .size:           12
        .value_kind:     by_value
      - .offset:         56
        .size:           8
        .value_kind:     by_value
      - .offset:         64
        .size:           8
        .value_kind:     by_value
      - .offset:         72
        .size:           8
        .value_kind:     by_value
      - .offset:         80
        .size:           4
        .value_kind:     hidden_block_count_x
      - .offset:         84
        .size:           4
        .value_kind:     hidden_block_count_y
      - .offset:         88
        .size:           4
        .value_kind:     hidden_block_count_z
      - .offset:         92
        .size:           2
        .value_kind:     hidden_group_size_x
      - .offset:         94
        .size:           2
        .value_kind:     hidden_group_size_y
      - .offset:         96
        .size:           2
        .value_kind:     hidden_group_size_z
      - .offset:         98
        .size:           2
        .value_kind:     hidden_remainder_x
      - .offset:         100
        .size:           2
        .value_kind:     hidden_remainder_y
      - .offset:         102
        .size:           2
        .value_kind:     hidden_remainder_z
      - .offset:         120
        .size:           8
        .value_kind:     hidden_global_offset_x
      - .offset:         128
        .size:           8
        .value_kind:     hidden_global_offset_y
      - .offset:         136
        .size:           8
        .value_kind:     hidden_global_offset_z
      - .offset:         144
        .size:           2
        .value_kind:     hidden_grid_dims
    .group_segment_fixed_size: 0
    .kernarg_segment_align: 8
    .kernarg_segment_size: 336
    .language:       OpenCL C
    .language_version:
      - 2
      - 0
    .max_flat_workgroup_size: 1024
    .name:           _ZL13convert_unaryI6__halffEvPKvPT0_lll15HIP_vector_typeIjLj3EElll
    .private_segment_fixed_size: 0
    .sgpr_count:     93
    .sgpr_spill_count: 0
    .symbol:         _ZL13convert_unaryI6__halffEvPKvPT0_lll15HIP_vector_typeIjLj3EElll.kd
    .uniform_work_group_size: 1
    .uses_dynamic_stack: false
    .vgpr_count:     17
    .vgpr_spill_count: 0
    .wavefront_size: 64
  - .agpr_count:     0
    .args:
      - .actual_access:  read_only
        .address_space:  global
        .offset:         0
        .size:           8
        .value_kind:     global_buffer
      - .actual_access:  write_only
        .address_space:  global
        .offset:         8
        .size:           8
        .value_kind:     global_buffer
      - .offset:         16
        .size:           8
        .value_kind:     by_value
      - .offset:         24
        .size:           8
        .value_kind:     by_value
      - .offset:         32
        .size:           8
        .value_kind:     by_value
      - .offset:         40
        .size:           12
        .value_kind:     by_value
      - .offset:         56
        .size:           8
        .value_kind:     by_value
      - .offset:         64
        .size:           8
        .value_kind:     by_value
      - .offset:         72
        .size:           8
        .value_kind:     by_value
      - .offset:         80
        .size:           4
        .value_kind:     hidden_block_count_x
      - .offset:         84
        .size:           4
        .value_kind:     hidden_block_count_y
      - .offset:         88
        .size:           4
        .value_kind:     hidden_block_count_z
      - .offset:         92
        .size:           2
        .value_kind:     hidden_group_size_x
      - .offset:         94
        .size:           2
        .value_kind:     hidden_group_size_y
      - .offset:         96
        .size:           2
        .value_kind:     hidden_group_size_z
      - .offset:         98
        .size:           2
        .value_kind:     hidden_remainder_x
      - .offset:         100
        .size:           2
        .value_kind:     hidden_remainder_y
      - .offset:         102
        .size:           2
        .value_kind:     hidden_remainder_z
      - .offset:         120
        .size:           8
        .value_kind:     hidden_global_offset_x
      - .offset:         128
        .size:           8
        .value_kind:     hidden_global_offset_y
      - .offset:         136
        .size:           8
        .value_kind:     hidden_global_offset_z
      - .offset:         144
        .size:           2
        .value_kind:     hidden_grid_dims
    .group_segment_fixed_size: 0
    .kernarg_segment_align: 8
    .kernarg_segment_size: 336
    .language:       OpenCL C
    .language_version:
      - 2
      - 0
    .max_flat_workgroup_size: 1024
    .name:           _ZL16dequantize_blockILi128ELi1EXadL_ZL15dequantize_q1_0PKvliR15HIP_vector_typeIfLj2EEEEfEvS1_PT2_lllS2_IjLj3EElll
    .private_segment_fixed_size: 0
    .sgpr_count:     46
    .sgpr_spill_count: 0
    .symbol:         _ZL16dequantize_blockILi128ELi1EXadL_ZL15dequantize_q1_0PKvliR15HIP_vector_typeIfLj2EEEEfEvS1_PT2_lllS2_IjLj3EElll.kd
    .uniform_work_group_size: 1
    .uses_dynamic_stack: false
    .vgpr_count:     20
    .vgpr_spill_count: 0
    .wavefront_size: 64
  - .agpr_count:     0
    .args:
      - .actual_access:  read_only
        .address_space:  global
        .offset:         0
        .size:           8
        .value_kind:     global_buffer
      - .actual_access:  write_only
        .address_space:  global
        .offset:         8
        .size:           8
        .value_kind:     global_buffer
      - .offset:         16
        .size:           8
        .value_kind:     by_value
      - .offset:         24
        .size:           8
        .value_kind:     by_value
      - .offset:         32
        .size:           8
        .value_kind:     by_value
      - .offset:         40
        .size:           12
        .value_kind:     by_value
      - .offset:         56
        .size:           8
        .value_kind:     by_value
      - .offset:         64
        .size:           8
        .value_kind:     by_value
      - .offset:         72
        .size:           8
        .value_kind:     by_value
      - .offset:         80
        .size:           4
        .value_kind:     hidden_block_count_x
      - .offset:         84
        .size:           4
        .value_kind:     hidden_block_count_y
      - .offset:         88
        .size:           4
        .value_kind:     hidden_block_count_z
      - .offset:         92
        .size:           2
        .value_kind:     hidden_group_size_x
      - .offset:         94
        .size:           2
        .value_kind:     hidden_group_size_y
      - .offset:         96
        .size:           2
        .value_kind:     hidden_group_size_z
      - .offset:         98
        .size:           2
        .value_kind:     hidden_remainder_x
      - .offset:         100
        .size:           2
        .value_kind:     hidden_remainder_y
      - .offset:         102
        .size:           2
        .value_kind:     hidden_remainder_z
      - .offset:         120
        .size:           8
        .value_kind:     hidden_global_offset_x
      - .offset:         128
        .size:           8
        .value_kind:     hidden_global_offset_y
      - .offset:         136
        .size:           8
        .value_kind:     hidden_global_offset_z
      - .offset:         144
        .size:           2
        .value_kind:     hidden_grid_dims
    .group_segment_fixed_size: 0
    .kernarg_segment_align: 8
    .kernarg_segment_size: 336
    .language:       OpenCL C
    .language_version:
      - 2
      - 0
    .max_flat_workgroup_size: 1024
    .name:           _ZL16dequantize_blockILi32ELi2EXadL_ZL15dequantize_q4_0PKvliR15HIP_vector_typeIfLj2EEEEfEvS1_PT2_lllS2_IjLj3EElll
    .private_segment_fixed_size: 0
    .sgpr_count:     44
    .sgpr_spill_count: 0
    .symbol:         _ZL16dequantize_blockILi32ELi2EXadL_ZL15dequantize_q4_0PKvliR15HIP_vector_typeIfLj2EEEEfEvS1_PT2_lllS2_IjLj3EElll.kd
    .uniform_work_group_size: 1
    .uses_dynamic_stack: false
    .vgpr_count:     18
    .vgpr_spill_count: 0
    .wavefront_size: 64
  - .agpr_count:     0
    .args:
      - .actual_access:  read_only
        .address_space:  global
        .offset:         0
        .size:           8
        .value_kind:     global_buffer
      - .actual_access:  write_only
        .address_space:  global
        .offset:         8
        .size:           8
        .value_kind:     global_buffer
      - .offset:         16
        .size:           8
        .value_kind:     by_value
      - .offset:         24
        .size:           8
        .value_kind:     by_value
      - .offset:         32
        .size:           8
        .value_kind:     by_value
      - .offset:         40
        .size:           12
        .value_kind:     by_value
      - .offset:         56
        .size:           8
        .value_kind:     by_value
      - .offset:         64
        .size:           8
        .value_kind:     by_value
      - .offset:         72
        .size:           8
        .value_kind:     by_value
      - .offset:         80
        .size:           4
        .value_kind:     hidden_block_count_x
      - .offset:         84
        .size:           4
        .value_kind:     hidden_block_count_y
      - .offset:         88
        .size:           4
        .value_kind:     hidden_block_count_z
      - .offset:         92
        .size:           2
        .value_kind:     hidden_group_size_x
      - .offset:         94
        .size:           2
        .value_kind:     hidden_group_size_y
      - .offset:         96
        .size:           2
        .value_kind:     hidden_group_size_z
      - .offset:         98
        .size:           2
        .value_kind:     hidden_remainder_x
      - .offset:         100
        .size:           2
        .value_kind:     hidden_remainder_y
      - .offset:         102
        .size:           2
        .value_kind:     hidden_remainder_z
      - .offset:         120
        .size:           8
        .value_kind:     hidden_global_offset_x
      - .offset:         128
        .size:           8
        .value_kind:     hidden_global_offset_y
      - .offset:         136
        .size:           8
        .value_kind:     hidden_global_offset_z
      - .offset:         144
        .size:           2
        .value_kind:     hidden_grid_dims
    .group_segment_fixed_size: 0
    .kernarg_segment_align: 8
    .kernarg_segment_size: 336
    .language:       OpenCL C
    .language_version:
      - 2
      - 0
    .max_flat_workgroup_size: 1024
    .name:           _ZL16dequantize_blockILi32ELi2EXadL_ZL15dequantize_q4_1PKvliR15HIP_vector_typeIfLj2EEEEfEvS1_PT2_lllS2_IjLj3EElll
    .private_segment_fixed_size: 0
    .sgpr_count:     44
    .sgpr_spill_count: 0
    .symbol:         _ZL16dequantize_blockILi32ELi2EXadL_ZL15dequantize_q4_1PKvliR15HIP_vector_typeIfLj2EEEEfEvS1_PT2_lllS2_IjLj3EElll.kd
    .uniform_work_group_size: 1
    .uses_dynamic_stack: false
    .vgpr_count:     18
    .vgpr_spill_count: 0
    .wavefront_size: 64
  - .agpr_count:     0
    .args:
      - .actual_access:  read_only
        .address_space:  global
        .offset:         0
        .size:           8
        .value_kind:     global_buffer
      - .actual_access:  write_only
        .address_space:  global
        .offset:         8
        .size:           8
        .value_kind:     global_buffer
      - .offset:         16
        .size:           8
        .value_kind:     by_value
      - .offset:         24
        .size:           8
        .value_kind:     by_value
      - .offset:         32
        .size:           8
        .value_kind:     by_value
      - .offset:         40
        .size:           12
        .value_kind:     by_value
      - .offset:         56
        .size:           8
        .value_kind:     by_value
      - .offset:         64
        .size:           8
        .value_kind:     by_value
      - .offset:         72
        .size:           8
        .value_kind:     by_value
      - .offset:         80
        .size:           4
        .value_kind:     hidden_block_count_x
      - .offset:         84
        .size:           4
        .value_kind:     hidden_block_count_y
      - .offset:         88
        .size:           4
        .value_kind:     hidden_block_count_z
      - .offset:         92
        .size:           2
        .value_kind:     hidden_group_size_x
      - .offset:         94
        .size:           2
        .value_kind:     hidden_group_size_y
      - .offset:         96
        .size:           2
        .value_kind:     hidden_group_size_z
      - .offset:         98
        .size:           2
        .value_kind:     hidden_remainder_x
      - .offset:         100
        .size:           2
        .value_kind:     hidden_remainder_y
      - .offset:         102
        .size:           2
        .value_kind:     hidden_remainder_z
      - .offset:         120
        .size:           8
        .value_kind:     hidden_global_offset_x
      - .offset:         128
        .size:           8
        .value_kind:     hidden_global_offset_y
      - .offset:         136
        .size:           8
        .value_kind:     hidden_global_offset_z
      - .offset:         144
        .size:           2
        .value_kind:     hidden_grid_dims
    .group_segment_fixed_size: 0
    .kernarg_segment_align: 8
    .kernarg_segment_size: 336
    .language:       OpenCL C
    .language_version:
      - 2
      - 0
    .max_flat_workgroup_size: 1024
    .name:           _ZL16dequantize_blockILi32ELi2EXadL_ZL15dequantize_q5_0PKvliR15HIP_vector_typeIfLj2EEEEfEvS1_PT2_lllS2_IjLj3EElll
    .private_segment_fixed_size: 0
    .sgpr_count:     45
    .sgpr_spill_count: 0
    .symbol:         _ZL16dequantize_blockILi32ELi2EXadL_ZL15dequantize_q5_0PKvliR15HIP_vector_typeIfLj2EEEEfEvS1_PT2_lllS2_IjLj3EElll.kd
    .uniform_work_group_size: 1
    .uses_dynamic_stack: false
    .vgpr_count:     18
    .vgpr_spill_count: 0
    .wavefront_size: 64
  - .agpr_count:     0
    .args:
      - .actual_access:  read_only
        .address_space:  global
        .offset:         0
        .size:           8
        .value_kind:     global_buffer
      - .actual_access:  write_only
        .address_space:  global
        .offset:         8
        .size:           8
        .value_kind:     global_buffer
      - .offset:         16
        .size:           8
        .value_kind:     by_value
      - .offset:         24
        .size:           8
        .value_kind:     by_value
      - .offset:         32
        .size:           8
        .value_kind:     by_value
      - .offset:         40
        .size:           12
        .value_kind:     by_value
      - .offset:         56
        .size:           8
        .value_kind:     by_value
      - .offset:         64
        .size:           8
        .value_kind:     by_value
      - .offset:         72
        .size:           8
        .value_kind:     by_value
      - .offset:         80
        .size:           4
        .value_kind:     hidden_block_count_x
      - .offset:         84
        .size:           4
        .value_kind:     hidden_block_count_y
      - .offset:         88
        .size:           4
        .value_kind:     hidden_block_count_z
      - .offset:         92
        .size:           2
        .value_kind:     hidden_group_size_x
      - .offset:         94
        .size:           2
        .value_kind:     hidden_group_size_y
      - .offset:         96
        .size:           2
        .value_kind:     hidden_group_size_z
      - .offset:         98
        .size:           2
        .value_kind:     hidden_remainder_x
      - .offset:         100
        .size:           2
        .value_kind:     hidden_remainder_y
      - .offset:         102
        .size:           2
        .value_kind:     hidden_remainder_z
      - .offset:         120
        .size:           8
        .value_kind:     hidden_global_offset_x
      - .offset:         128
        .size:           8
        .value_kind:     hidden_global_offset_y
      - .offset:         136
        .size:           8
        .value_kind:     hidden_global_offset_z
      - .offset:         144
        .size:           2
        .value_kind:     hidden_grid_dims
    .group_segment_fixed_size: 0
    .kernarg_segment_align: 8
    .kernarg_segment_size: 336
    .language:       OpenCL C
    .language_version:
      - 2
      - 0
    .max_flat_workgroup_size: 1024
    .name:           _ZL16dequantize_blockILi32ELi2EXadL_ZL15dequantize_q5_1PKvliR15HIP_vector_typeIfLj2EEEEfEvS1_PT2_lllS2_IjLj3EElll
    .private_segment_fixed_size: 0
    .sgpr_count:     44
    .sgpr_spill_count: 0
    .symbol:         _ZL16dequantize_blockILi32ELi2EXadL_ZL15dequantize_q5_1PKvliR15HIP_vector_typeIfLj2EEEEfEvS1_PT2_lllS2_IjLj3EElll.kd
    .uniform_work_group_size: 1
    .uses_dynamic_stack: false
    .vgpr_count:     21
    .vgpr_spill_count: 0
    .wavefront_size: 64
  - .agpr_count:     0
    .args:
      - .actual_access:  read_only
        .address_space:  global
        .offset:         0
        .size:           8
        .value_kind:     global_buffer
      - .actual_access:  write_only
        .address_space:  global
        .offset:         8
        .size:           8
        .value_kind:     global_buffer
      - .offset:         16
        .size:           8
        .value_kind:     by_value
      - .offset:         24
        .size:           8
        .value_kind:     by_value
      - .offset:         32
        .size:           8
        .value_kind:     by_value
      - .offset:         40
        .size:           12
        .value_kind:     by_value
      - .offset:         56
        .size:           8
        .value_kind:     by_value
      - .offset:         64
        .size:           8
        .value_kind:     by_value
      - .offset:         72
        .size:           8
        .value_kind:     by_value
      - .offset:         80
        .size:           4
        .value_kind:     hidden_block_count_x
      - .offset:         84
        .size:           4
        .value_kind:     hidden_block_count_y
      - .offset:         88
        .size:           4
        .value_kind:     hidden_block_count_z
      - .offset:         92
        .size:           2
        .value_kind:     hidden_group_size_x
      - .offset:         94
        .size:           2
        .value_kind:     hidden_group_size_y
      - .offset:         96
        .size:           2
        .value_kind:     hidden_group_size_z
      - .offset:         98
        .size:           2
        .value_kind:     hidden_remainder_x
      - .offset:         100
        .size:           2
        .value_kind:     hidden_remainder_y
      - .offset:         102
        .size:           2
        .value_kind:     hidden_remainder_z
      - .offset:         120
        .size:           8
        .value_kind:     hidden_global_offset_x
      - .offset:         128
        .size:           8
        .value_kind:     hidden_global_offset_y
      - .offset:         136
        .size:           8
        .value_kind:     hidden_global_offset_z
      - .offset:         144
        .size:           2
        .value_kind:     hidden_grid_dims
    .group_segment_fixed_size: 0
    .kernarg_segment_align: 8
    .kernarg_segment_size: 336
    .language:       OpenCL C
    .language_version:
      - 2
      - 0
    .max_flat_workgroup_size: 1024
    .name:           _ZL16dequantize_blockILi32ELi1EXadL_ZL15dequantize_q8_0PKvliR15HIP_vector_typeIfLj2EEEEfEvS1_PT2_lllS2_IjLj3EElll
    .private_segment_fixed_size: 0
    .sgpr_count:     46
    .sgpr_spill_count: 0
    .symbol:         _ZL16dequantize_blockILi32ELi1EXadL_ZL15dequantize_q8_0PKvliR15HIP_vector_typeIfLj2EEEEfEvS1_PT2_lllS2_IjLj3EElll.kd
    .uniform_work_group_size: 1
    .uses_dynamic_stack: false
    .vgpr_count:     18
    .vgpr_spill_count: 0
    .wavefront_size: 64
  - .agpr_count:     0
    .args:
      - .actual_access:  read_only
        .address_space:  global
        .offset:         0
        .size:           8
        .value_kind:     global_buffer
      - .actual_access:  write_only
        .address_space:  global
        .offset:         8
        .size:           8
        .value_kind:     global_buffer
      - .offset:         16
        .size:           8
        .value_kind:     by_value
      - .offset:         24
        .size:           8
        .value_kind:     by_value
      - .offset:         32
        .size:           8
        .value_kind:     by_value
      - .offset:         40
        .size:           12
        .value_kind:     by_value
      - .offset:         56
        .size:           8
        .value_kind:     by_value
      - .offset:         64
        .size:           8
        .value_kind:     by_value
      - .offset:         72
        .size:           8
        .value_kind:     by_value
      - .offset:         80
        .size:           4
        .value_kind:     hidden_block_count_x
      - .offset:         84
        .size:           4
        .value_kind:     hidden_block_count_y
      - .offset:         88
        .size:           4
        .value_kind:     hidden_block_count_z
      - .offset:         92
        .size:           2
        .value_kind:     hidden_group_size_x
      - .offset:         94
        .size:           2
        .value_kind:     hidden_group_size_y
      - .offset:         96
        .size:           2
        .value_kind:     hidden_group_size_z
      - .offset:         98
        .size:           2
        .value_kind:     hidden_remainder_x
      - .offset:         100
        .size:           2
        .value_kind:     hidden_remainder_y
      - .offset:         102
        .size:           2
        .value_kind:     hidden_remainder_z
      - .offset:         120
        .size:           8
        .value_kind:     hidden_global_offset_x
      - .offset:         128
        .size:           8
        .value_kind:     hidden_global_offset_y
      - .offset:         136
        .size:           8
        .value_kind:     hidden_global_offset_z
      - .offset:         144
        .size:           2
        .value_kind:     hidden_grid_dims
    .group_segment_fixed_size: 0
    .kernarg_segment_align: 8
    .kernarg_segment_size: 336
    .language:       OpenCL C
    .language_version:
      - 2
      - 0
    .max_flat_workgroup_size: 1024
    .name:           _ZL13convert_unaryI14__hip_bfloat16fEvPKvPT0_lll15HIP_vector_typeIjLj3EElll
    .private_segment_fixed_size: 0
    .sgpr_count:     93
    .sgpr_spill_count: 0
    .symbol:         _ZL13convert_unaryI14__hip_bfloat16fEvPKvPT0_lll15HIP_vector_typeIjLj3EElll.kd
    .uniform_work_group_size: 1
    .uses_dynamic_stack: false
    .vgpr_count:     17
    .vgpr_spill_count: 0
    .wavefront_size: 64
amdhsa.target:   amdgcn-amd-amdhsa--gfx942
amdhsa.version:
  - 1
  - 2
...

	.end_amdgpu_metadata
